;; amdgpu-corpus repo=ROCm/rocFFT kind=compiled arch=gfx950 opt=O3
	.text
	.amdgcn_target "amdgcn-amd-amdhsa--gfx950"
	.amdhsa_code_object_version 6
	.protected	bluestein_single_fwd_len686_dim1_half_op_CI_CI ; -- Begin function bluestein_single_fwd_len686_dim1_half_op_CI_CI
	.globl	bluestein_single_fwd_len686_dim1_half_op_CI_CI
	.p2align	8
	.type	bluestein_single_fwd_len686_dim1_half_op_CI_CI,@function
bluestein_single_fwd_len686_dim1_half_op_CI_CI: ; @bluestein_single_fwd_len686_dim1_half_op_CI_CI
; %bb.0:
	s_load_dwordx4 s[12:15], s[0:1], 0x28
	v_mul_u32_u24_e32 v1, 0x53a, v0
	v_add_u32_sdwa v14, s2, v1 dst_sel:DWORD dst_unused:UNUSED_PAD src0_sel:DWORD src1_sel:WORD_1
	v_mov_b32_e32 v15, 0
	s_waitcnt lgkmcnt(0)
	v_cmp_gt_u64_e32 vcc, s[12:13], v[14:15]
	s_and_saveexec_b64 s[2:3], vcc
	s_cbranch_execz .LBB0_2
; %bb.1:
	s_load_dwordx4 s[4:7], s[0:1], 0x18
	s_load_dwordx4 s[8:11], s[0:1], 0x0
	v_mov_b32_e32 v2, s14
	v_mov_b32_e32 v3, s15
	;; [unrolled: 1-line block ×3, first 2 shown]
	s_waitcnt lgkmcnt(0)
	s_load_dwordx4 s[12:15], s[4:5], 0x0
	v_mul_lo_u16_sdwa v1, v1, v4 dst_sel:DWORD dst_unused:UNUSED_PAD src0_sel:WORD_1 src1_sel:DWORD
	v_sub_u16_e32 v12, v0, v1
	v_lshlrev_b32_e32 v49, 2, v12
	global_load_dword v52, v49, s[8:9]
	s_waitcnt lgkmcnt(0)
	v_mad_u64_u32 v[0:1], s[2:3], s14, v14, 0
	v_mov_b32_e32 v4, v1
	v_mad_u64_u32 v[4:5], s[2:3], s15, v14, v[4:5]
	v_mov_b32_e32 v1, v4
	v_mad_u64_u32 v[4:5], s[2:3], s12, v12, 0
	v_mov_b32_e32 v6, v5
	v_mad_u64_u32 v[6:7], s[2:3], s13, v12, v[6:7]
	v_mov_b32_e32 v5, v6
	v_lshl_add_u64 v[0:1], v[0:1], 2, v[2:3]
	v_lshl_add_u64 v[0:1], v[4:5], 2, v[0:1]
	global_load_dword v2, v[0:1], off
	v_mov_b32_e32 v15, 0x188
	v_mad_u64_u32 v[0:1], s[2:3], s12, v15, v[0:1]
	s_mul_i32 s15, s13, 0x188
	v_add_u32_e32 v1, s15, v1
	global_load_dword v3, v[0:1], off
	global_load_dword v50, v49, s[8:9] offset:392
	v_mad_u64_u32 v[0:1], s[2:3], s12, v15, v[0:1]
	v_add_u32_e32 v1, s15, v1
	global_load_dword v4, v[0:1], off
	global_load_dword v48, v49, s[8:9] offset:784
	v_mad_u64_u32 v[0:1], s[2:3], s12, v15, v[0:1]
	;; [unrolled: 4-line block ×3, first 2 shown]
	v_add_u32_e32 v1, s15, v1
	global_load_dword v6, v[0:1], off
	global_load_dword v46, v49, s[8:9] offset:1568
	global_load_dword v45, v49, s[8:9] offset:1960
	v_mad_u64_u32 v[0:1], s[4:5], s12, v15, v[0:1]
	v_add_u32_e32 v1, s15, v1
	global_load_dword v7, v[0:1], off
	global_load_dword v44, v49, s[8:9] offset:2352
	global_load_dword v39, v49, s[8:9] offset:1372
	;; [unrolled: 1-line block ×3, first 2 shown]
	v_mad_u64_u32 v[0:1], s[4:5], s12, v15, v[0:1]
	v_add_u32_e32 v1, s15, v1
	global_load_dword v8, v[0:1], off
	global_load_dword v42, v49, s[8:9] offset:588
	v_mov_b32_e32 v41, 0xfffff794
	s_add_u32 s2, s8, 0xab8
	s_mul_i32 s4, s13, 0xfffff794
	s_addc_u32 s3, s9, 0
	s_sub_i32 s13, s4, s12
	v_mad_u64_u32 v[0:1], s[4:5], s12, v41, v[0:1]
	v_add_u32_e32 v1, s13, v1
	global_load_dword v10, v[0:1], off
	global_load_dword v43, v49, s[8:9] offset:196
	s_mov_b32 s16, 0
	v_mov_b32_e32 v13, s16
	v_mad_u64_u32 v[0:1], s[16:17], s12, v15, v[0:1]
	v_add_u32_e32 v1, s15, v1
	s_load_dwordx4 s[4:7], s[6:7], 0x0
	global_load_dword v11, v[0:1], off
	global_load_dword v36, v49, s[8:9] offset:2548
	global_load_dword v37, v49, s[8:9] offset:2156
	;; [unrolled: 1-line block ×3, first 2 shown]
	v_mad_u64_u32 v[0:1], s[16:17], s12, v15, v[0:1]
	v_add_u32_e32 v1, s15, v1
	global_load_dword v16, v[0:1], off
	v_mad_u64_u32 v[0:1], s[16:17], s12, v15, v[0:1]
	v_add_u32_e32 v1, s15, v1
	global_load_dword v17, v[0:1], off
	;; [unrolled: 3-line block ×3, first 2 shown]
	v_mad_u64_u32 v[0:1], s[16:17], s12, v15, v[0:1]
	v_add_u32_e32 v1, s15, v1
	v_add_u32_e32 v53, 0x400, v49
	;; [unrolled: 1-line block ×3, first 2 shown]
	s_movk_i32 s19, 0x3a52
	s_movk_i32 s22, 0x3b00
	s_mov_b32 s16, 0xb846
	s_movk_i32 s20, 0x3cab
	s_movk_i32 s21, 0x370e
	s_mov_b32 s14, 0xffff
	s_mov_b32 s18, 0xb9e0
	;; [unrolled: 1-line block ×3, first 2 shown]
	s_waitcnt vmcnt(24)
	v_lshrrev_b32_e32 v9, 16, v2
	v_mul_f16_sdwa v20, v52, v9 dst_sel:DWORD dst_unused:UNUSED_PAD src0_sel:WORD_1 src1_sel:DWORD
	v_mul_f16_sdwa v19, v52, v2 dst_sel:DWORD dst_unused:UNUSED_PAD src0_sel:WORD_1 src1_sel:DWORD
	v_fma_f16 v2, v52, v2, v20
	global_load_dword v20, v[0:1], off
	v_mad_u64_u32 v[0:1], s[12:13], s12, v15, v[0:1]
	v_add_u32_e32 v1, s15, v1
	global_load_dword v0, v[0:1], off
	v_fma_f16 v9, v52, v9, -v19
	s_waitcnt vmcnt(25)
	v_lshrrev_b32_e32 v19, 16, v3
	v_pack_b32_f16 v2, v2, v9
	s_waitcnt vmcnt(24)
	v_mul_f16_sdwa v9, v50, v19 dst_sel:DWORD dst_unused:UNUSED_PAD src0_sel:WORD_1 src1_sel:DWORD
	v_fma_f16 v9, v50, v3, v9
	v_mul_f16_sdwa v3, v50, v3 dst_sel:DWORD dst_unused:UNUSED_PAD src0_sel:WORD_1 src1_sel:DWORD
	v_fma_f16 v3, v50, v19, -v3
	v_pack_b32_f16 v3, v9, v3
	s_waitcnt vmcnt(23)
	v_lshrrev_b32_e32 v1, 16, v4
	ds_write_b32 v49, v3 offset:392
	s_waitcnt vmcnt(22)
	v_mul_f16_sdwa v3, v48, v1 dst_sel:DWORD dst_unused:UNUSED_PAD src0_sel:WORD_1 src1_sel:DWORD
	v_fma_f16 v3, v48, v4, v3
	v_mul_f16_sdwa v4, v48, v4 dst_sel:DWORD dst_unused:UNUSED_PAD src0_sel:WORD_1 src1_sel:DWORD
	v_fma_f16 v1, v48, v1, -v4
	v_pack_b32_f16 v1, v3, v1
	ds_write_b32 v49, v1 offset:784
	s_waitcnt vmcnt(21)
	v_lshrrev_b32_e32 v1, 16, v5
	s_waitcnt vmcnt(20)
	v_mul_f16_sdwa v3, v47, v1 dst_sel:DWORD dst_unused:UNUSED_PAD src0_sel:WORD_1 src1_sel:DWORD
	v_mul_f16_sdwa v4, v47, v5 dst_sel:DWORD dst_unused:UNUSED_PAD src0_sel:WORD_1 src1_sel:DWORD
	v_fma_f16 v3, v47, v5, v3
	v_fma_f16 v1, v47, v1, -v4
	v_pack_b32_f16 v1, v3, v1
	ds_write_b32 v49, v1 offset:1176
	s_waitcnt vmcnt(19)
	v_lshrrev_b32_e32 v1, 16, v6
	s_waitcnt vmcnt(18)
	v_mul_f16_sdwa v3, v46, v1 dst_sel:DWORD dst_unused:UNUSED_PAD src0_sel:WORD_1 src1_sel:DWORD
	v_mul_f16_sdwa v4, v46, v6 dst_sel:DWORD dst_unused:UNUSED_PAD src0_sel:WORD_1 src1_sel:DWORD
	v_fma_f16 v3, v46, v6, v3
	v_fma_f16 v1, v46, v1, -v4
	v_pack_b32_f16 v1, v3, v1
	ds_write_b32 v49, v1 offset:1568
	s_waitcnt vmcnt(16)
	v_lshrrev_b32_e32 v1, 16, v7
	v_mul_f16_sdwa v3, v45, v1 dst_sel:DWORD dst_unused:UNUSED_PAD src0_sel:WORD_1 src1_sel:DWORD
	v_mul_f16_sdwa v4, v45, v7 dst_sel:DWORD dst_unused:UNUSED_PAD src0_sel:WORD_1 src1_sel:DWORD
	v_fma_f16 v3, v45, v7, v3
	v_fma_f16 v1, v45, v1, -v4
	v_pack_b32_f16 v1, v3, v1
	ds_write_b32 v49, v1 offset:1960
	s_waitcnt vmcnt(12)
	v_lshrrev_b32_e32 v1, 16, v8
	;; [unrolled: 8-line block ×3, first 2 shown]
	s_waitcnt vmcnt(9)
	v_mul_f16_sdwa v3, v43, v1 dst_sel:DWORD dst_unused:UNUSED_PAD src0_sel:WORD_1 src1_sel:DWORD
	v_mul_f16_sdwa v4, v43, v10 dst_sel:DWORD dst_unused:UNUSED_PAD src0_sel:WORD_1 src1_sel:DWORD
	v_fma_f16 v3, v43, v10, v3
	v_fma_f16 v1, v43, v1, -v4
	v_pack_b32_f16 v1, v3, v1
	ds_write2_b32 v49, v2, v1 offset1:49
	s_waitcnt vmcnt(8)
	v_lshrrev_b32_e32 v1, 16, v11
	v_mul_f16_sdwa v2, v42, v1 dst_sel:DWORD dst_unused:UNUSED_PAD src0_sel:WORD_1 src1_sel:DWORD
	v_mul_f16_sdwa v3, v42, v11 dst_sel:DWORD dst_unused:UNUSED_PAD src0_sel:WORD_1 src1_sel:DWORD
	v_fma_f16 v2, v42, v11, v2
	v_fma_f16 v1, v42, v1, -v3
	v_pack_b32_f16 v1, v2, v1
	ds_write_b32 v49, v1 offset:588
	s_waitcnt vmcnt(4)
	v_lshrrev_b32_e32 v1, 16, v16
	v_mul_f16_sdwa v2, v40, v1 dst_sel:DWORD dst_unused:UNUSED_PAD src0_sel:WORD_1 src1_sel:DWORD
	v_mul_f16_sdwa v3, v40, v16 dst_sel:DWORD dst_unused:UNUSED_PAD src0_sel:WORD_1 src1_sel:DWORD
	v_fma_f16 v2, v40, v16, v2
	v_fma_f16 v1, v40, v1, -v3
	v_pack_b32_f16 v1, v2, v1
	ds_write_b32 v49, v1 offset:980
	;; [unrolled: 8-line block ×5, first 2 shown]
	s_waitcnt vmcnt(0)
	v_lshrrev_b32_e32 v1, 16, v0
	v_mul_f16_sdwa v2, v36, v1 dst_sel:DWORD dst_unused:UNUSED_PAD src0_sel:WORD_1 src1_sel:DWORD
	v_fma_f16 v2, v36, v0, v2
	v_mul_f16_sdwa v0, v36, v0 dst_sel:DWORD dst_unused:UNUSED_PAD src0_sel:WORD_1 src1_sel:DWORD
	v_fma_f16 v0, v36, v1, -v0
	v_pack_b32_f16 v0, v2, v0
	v_lshl_add_u64 v[8:9], v[12:13], 0, 49
	ds_write_b32 v49, v0 offset:2548
	v_mul_lo_u16_e32 v0, 7, v12
	v_add_u32_e32 v13, 0x800, v49
	s_waitcnt lgkmcnt(0)
	; wave barrier
	s_waitcnt lgkmcnt(0)
	v_lshlrev_b32_e32 v56, 2, v0
	ds_read2_b32 v[0:1], v49 offset0:98 offset1:147
	ds_read2_b32 v[2:3], v49 offset0:196 offset1:245
	;; [unrolled: 1-line block ×6, first 2 shown]
	ds_read2_b32 v[18:19], v49 offset1:49
	s_movk_i32 s12, 0x3574
	s_waitcnt lgkmcnt(3)
	v_pk_add_f16 v23, v0, v6
	s_waitcnt lgkmcnt(2)
	v_pk_add_f16 v24, v2, v10
	;; [unrolled: 2-line block ×3, first 2 shown]
	v_pk_add_f16 v0, v0, v6 neg_lo:[0,1] neg_hi:[0,1]
	v_pk_add_f16 v4, v16, v4 neg_lo:[0,1] neg_hi:[0,1]
	v_pk_add_f16 v26, v24, v23
	v_pk_add_f16 v2, v2, v10 neg_lo:[0,1] neg_hi:[0,1]
	v_pk_add_f16 v6, v24, v23 neg_lo:[0,1] neg_hi:[0,1]
	;; [unrolled: 1-line block ×5, first 2 shown]
	s_movk_i32 s15, 0x2b26
	v_pk_add_f16 v26, v25, v26
	v_pk_add_f16 v16, v4, v2
	v_pk_add_f16 v27, v2, v0 neg_lo:[0,1] neg_hi:[0,1]
	s_movk_i32 s13, 0x39e0
	v_pk_mul_f16 v29, v23, s12 op_sel_hi:[1,0]
	v_pk_mul_f16 v24, v24, s15 op_sel_hi:[1,0]
	v_pk_add_f16 v2, v4, v2 neg_lo:[0,1] neg_hi:[0,1]
	s_waitcnt lgkmcnt(0)
	v_pk_add_f16 v18, v18, v26
	v_pk_add_f16 v0, v16, v0
	v_pk_mul_f16 v16, v10, s19 op_sel_hi:[1,0]
	v_pk_mul_f16 v28, v6, s13 op_sel_hi:[1,0]
	;; [unrolled: 1-line block ×4, first 2 shown]
	v_alignbit_b32 v25, s0, v24, 16
	v_pk_fma_f16 v2, v2, s16, v29 op_sel_hi:[1,0,1]
	v_pk_fma_f16 v26, v26, s20, v18 op_sel_hi:[1,0,1] neg_lo:[1,0,0] neg_hi:[1,0,0]
	v_pk_add_f16 v28, v16, v28 op_sel:[1,1] op_sel_hi:[0,0] neg_lo:[1,1] neg_hi:[1,1]
	v_pk_fma_f16 v23, v23, s12, v30 op_sel_hi:[1,0,1] neg_lo:[1,0,1] neg_hi:[1,0,1]
	v_pk_fma_f16 v10, v10, s19, v24 op_sel_hi:[1,0,1]
	v_pk_add_f16 v16, v25, v16 op_sel:[0,1] op_sel_hi:[1,0]
	v_pk_fma_f16 v6, v6, s13, v24 op_sel_hi:[1,0,1] neg_lo:[0,0,1] neg_hi:[0,0,1]
	v_pk_fma_f16 v4, v27, s22, v4 op_sel_hi:[1,0,1] neg_lo:[0,0,1] neg_hi:[0,0,1]
	v_pk_fma_f16 v2, v0, s21, v2 op_sel_hi:[1,0,1]
	v_pk_fma_f16 v23, v0, s21, v23 op_sel_hi:[1,0,1]
	v_pk_add_f16 v10, v10, v26
	v_pk_add_f16 v16, v16, v26 op_sel:[0,1] op_sel_hi:[1,0]
	v_pk_add_f16 v6, v6, v26
	v_pk_fma_f16 v0, v0, s21, v4 op_sel_hi:[1,0,1]
	v_alignbit_b32 v4, s0, v2, 16
	v_pk_add_f16 v28, v28, v26 op_sel:[0,1] op_sel_hi:[1,0]
	v_pk_add_f16 v24, v10, v4
	v_pk_add_f16 v25, v16, v2 neg_lo:[0,1] neg_hi:[0,1]
	v_pk_add_f16 v26, v6, v0 op_sel:[0,1] op_sel_hi:[1,0] neg_lo:[0,1] neg_hi:[0,1]
	v_pk_add_f16 v0, v6, v0 op_sel:[0,1] op_sel_hi:[1,0]
	v_pk_add_f16 v30, v28, v23
	v_pk_add_f16 v23, v28, v23 neg_lo:[0,1] neg_hi:[0,1]
	v_bfi_b32 v6, s14, v26, v0
	v_pk_add_f16 v4, v10, v4 neg_lo:[0,1] neg_hi:[0,1]
	v_pack_b32_f16 v10, v24, v25
	s_waitcnt lgkmcnt(0)
	; wave barrier
	v_alignbit_b32 v28, v23, v30, 16
	v_pk_add_f16 v2, v2, v16
	ds_write2_b32 v56, v18, v10 offset1:1
	ds_write2_b32 v56, v28, v6 offset0:2 offset1:3
	v_bfi_b32 v0, s14, v0, v26
	v_alignbit_b32 v6, v30, v23, 16
	v_mul_u32_u24_e32 v9, 7, v8
	ds_write2_b32 v56, v0, v6 offset0:4 offset1:5
	v_pack_b32_f16 v0, v4, v2
	v_lshlrev_b32_e32 v54, 2, v9
	v_pk_add_f16 v9, v1, v7
	v_pk_add_f16 v20, v3, v11
	;; [unrolled: 1-line block ×3, first 2 shown]
	ds_write_b32 v56, v0 offset:24
	v_pk_add_f16 v0, v1, v7 neg_lo:[0,1] neg_hi:[0,1]
	v_pk_add_f16 v2, v17, v5 neg_lo:[0,1] neg_hi:[0,1]
	v_pk_add_f16 v22, v20, v9
	v_pk_add_f16 v1, v3, v11 neg_lo:[0,1] neg_hi:[0,1]
	v_pk_add_f16 v6, v0, v2 neg_lo:[0,1] neg_hi:[0,1]
	v_pk_add_f16 v17, v21, v20 neg_lo:[0,1] neg_hi:[0,1]
	v_pk_add_f16 v22, v21, v22
	v_pk_add_f16 v3, v20, v9 neg_lo:[0,1] neg_hi:[0,1]
	v_pk_add_f16 v4, v9, v21 neg_lo:[0,1] neg_hi:[0,1]
	v_pk_add_f16 v5, v2, v1
	v_pk_add_f16 v7, v1, v0 neg_lo:[0,1] neg_hi:[0,1]
	v_pk_mul_f16 v10, v6, s12 op_sel_hi:[1,0]
	v_pk_mul_f16 v17, v17, s15 op_sel_hi:[1,0]
	v_pk_add_f16 v1, v2, v1 neg_lo:[0,1] neg_hi:[0,1]
	v_pk_add_f16 v19, v19, v22
	v_pk_add_f16 v0, v5, v0
	v_pk_mul_f16 v5, v4, s19 op_sel_hi:[1,0]
	v_pk_mul_f16 v9, v3, s13 op_sel_hi:[1,0]
	;; [unrolled: 1-line block ×4, first 2 shown]
	v_alignbit_b32 v18, s0, v17, 16
	v_pk_fma_f16 v1, v1, s16, v10 op_sel_hi:[1,0,1]
	v_pk_fma_f16 v16, v22, s20, v19 op_sel_hi:[1,0,1] neg_lo:[1,0,0] neg_hi:[1,0,0]
	v_pk_add_f16 v9, v5, v9 op_sel:[1,1] op_sel_hi:[0,0] neg_lo:[1,1] neg_hi:[1,1]
	v_pk_fma_f16 v6, v6, s12, v11 op_sel_hi:[1,0,1] neg_lo:[1,0,1] neg_hi:[1,0,1]
	v_pk_fma_f16 v4, v4, s19, v17 op_sel_hi:[1,0,1]
	v_pk_add_f16 v5, v18, v5 op_sel:[0,1] op_sel_hi:[1,0]
	v_pk_fma_f16 v3, v3, s13, v17 op_sel_hi:[1,0,1] neg_lo:[0,0,1] neg_hi:[0,0,1]
	v_pk_fma_f16 v2, v7, s22, v2 op_sel_hi:[1,0,1] neg_lo:[0,0,1] neg_hi:[0,0,1]
	v_pk_fma_f16 v1, v0, s21, v1 op_sel_hi:[1,0,1]
	v_pk_fma_f16 v6, v0, s21, v6 op_sel_hi:[1,0,1]
	v_pk_add_f16 v4, v4, v16
	v_pk_add_f16 v5, v5, v16 op_sel:[0,1] op_sel_hi:[1,0]
	v_pk_add_f16 v3, v3, v16
	v_pk_fma_f16 v0, v0, s21, v2 op_sel_hi:[1,0,1]
	v_alignbit_b32 v2, s0, v1, 16
	v_pk_add_f16 v9, v9, v16 op_sel:[0,1] op_sel_hi:[1,0]
	v_pk_add_f16 v7, v4, v2
	v_pk_add_f16 v10, v5, v1 neg_lo:[0,1] neg_hi:[0,1]
	v_pk_add_f16 v16, v3, v0 op_sel:[0,1] op_sel_hi:[1,0] neg_lo:[0,1] neg_hi:[0,1]
	v_pk_add_f16 v0, v3, v0 op_sel:[0,1] op_sel_hi:[1,0]
	v_pk_add_f16 v11, v9, v6
	v_pk_add_f16 v6, v9, v6 neg_lo:[0,1] neg_hi:[0,1]
	v_bfi_b32 v3, s14, v16, v0
	v_pk_add_f16 v2, v4, v2 neg_lo:[0,1] neg_hi:[0,1]
	v_pack_b32_f16 v4, v7, v10
	v_alignbit_b32 v9, v6, v11, 16
	v_pk_add_f16 v1, v1, v5
	ds_write2_b32 v54, v19, v4 offset1:1
	ds_write2_b32 v54, v9, v3 offset0:2 offset1:3
	v_bfi_b32 v0, s14, v0, v16
	v_alignbit_b32 v3, v11, v6, 16
	ds_write2_b32 v54, v0, v3 offset0:4 offset1:5
	v_pack_b32_f16 v0, v2, v1
	v_mov_b32_e32 v9, 37
	ds_write_b32 v54, v0 offset:24
	v_mul_lo_u16_sdwa v0, v12, v9 dst_sel:DWORD dst_unused:UNUSED_PAD src0_sel:BYTE_0 src1_sel:DWORD
	v_sub_u16_sdwa v1, v12, v0 dst_sel:DWORD dst_unused:UNUSED_PAD src0_sel:DWORD src1_sel:BYTE_1
	v_lshrrev_b16_e32 v1, 1, v1
	v_and_b32_e32 v1, 0x7f, v1
	v_add_u16_sdwa v0, v1, v0 dst_sel:DWORD dst_unused:UNUSED_PAD src0_sel:DWORD src1_sel:BYTE_1
	v_lshrrev_b16_e32 v28, 2, v0
	v_mul_lo_u16_e32 v0, 7, v28
	v_sub_u16_e32 v0, v12, v0
	v_and_b32_e32 v29, 0xff, v0
	v_mul_u32_u24_e32 v0, 6, v29
	v_lshlrev_b32_e32 v4, 2, v0
	s_waitcnt lgkmcnt(0)
	; wave barrier
	s_waitcnt lgkmcnt(0)
	global_load_dwordx4 v[0:3], v4, s[10:11]
	global_load_dwordx2 v[16:17], v4, s[10:11] offset:16
	ds_read2_b32 v[26:27], v49 offset0:98 offset1:147
	ds_read2_b32 v[24:25], v49 offset0:196 offset1:245
	;; [unrolled: 1-line block ×6, first 2 shown]
	s_waitcnt lgkmcnt(4)
	v_lshrrev_b32_e32 v11, 16, v24
	s_waitcnt lgkmcnt(3)
	v_lshrrev_b32_e32 v20, 16, v22
	v_mul_lo_u16_sdwa v9, v8, v9 dst_sel:DWORD dst_unused:UNUSED_PAD src0_sel:BYTE_0 src1_sel:DWORD
	v_lshrrev_b32_e32 v10, 16, v26
	s_waitcnt lgkmcnt(1)
	v_lshrrev_b32_e32 v30, 16, v6
	s_waitcnt lgkmcnt(0)
	v_lshrrev_b32_e32 v31, 16, v4
	v_lshrrev_b32_e32 v21, 16, v18
	v_mul_u32_u24_e32 v28, 49, v28
	s_mov_b32 s16, 0xbcab
	s_waitcnt vmcnt(1)
	v_mul_f16_sdwa v32, v10, v0 dst_sel:DWORD dst_unused:UNUSED_PAD src0_sel:DWORD src1_sel:WORD_1
	v_fma_f16 v32, v26, v0, -v32
	v_mul_f16_sdwa v26, v26, v0 dst_sel:DWORD dst_unused:UNUSED_PAD src0_sel:DWORD src1_sel:WORD_1
	v_fma_f16 v10, v10, v0, v26
	v_mul_f16_sdwa v26, v11, v1 dst_sel:DWORD dst_unused:UNUSED_PAD src0_sel:DWORD src1_sel:WORD_1
	v_fma_f16 v26, v24, v1, -v26
	v_mul_f16_sdwa v24, v24, v1 dst_sel:DWORD dst_unused:UNUSED_PAD src0_sel:DWORD src1_sel:WORD_1
	v_fma_f16 v11, v11, v1, v24
	;; [unrolled: 4-line block ×3, first 2 shown]
	s_waitcnt vmcnt(0)
	v_mul_f16_sdwa v20, v30, v16 dst_sel:DWORD dst_unused:UNUSED_PAD src0_sel:DWORD src1_sel:WORD_1
	v_fma_f16 v20, v6, v16, -v20
	v_mul_f16_sdwa v6, v6, v16 dst_sel:DWORD dst_unused:UNUSED_PAD src0_sel:DWORD src1_sel:WORD_1
	v_fma_f16 v6, v30, v16, v6
	v_sub_u16_sdwa v30, v8, v9 dst_sel:DWORD dst_unused:UNUSED_PAD src0_sel:DWORD src1_sel:BYTE_1
	v_lshrrev_b16_e32 v30, 1, v30
	v_and_b32_e32 v30, 0x7f, v30
	v_add_u16_sdwa v9, v30, v9 dst_sel:DWORD dst_unused:UNUSED_PAD src0_sel:DWORD src1_sel:BYTE_1
	v_lshrrev_b16_e32 v30, 2, v9
	v_mul_lo_u16_e32 v9, 7, v30
	v_sub_u16_e32 v8, v8, v9
	v_mul_f16_sdwa v9, v31, v17 dst_sel:DWORD dst_unused:UNUSED_PAD src0_sel:DWORD src1_sel:WORD_1
	v_fma_f16 v9, v4, v17, -v9
	v_mul_f16_sdwa v4, v4, v17 dst_sel:DWORD dst_unused:UNUSED_PAD src0_sel:DWORD src1_sel:WORD_1
	v_fma_f16 v4, v31, v17, v4
	v_add_f16_e32 v31, v32, v9
	v_sub_f16_e32 v32, v32, v9
	v_mul_f16_sdwa v9, v18, v3 dst_sel:DWORD dst_unused:UNUSED_PAD src0_sel:DWORD src1_sel:WORD_1
	v_and_b32_e32 v57, 0xff, v8
	v_fma_f16 v55, v21, v3, v9
	v_mul_f16_sdwa v9, v21, v3 dst_sel:DWORD dst_unused:UNUSED_PAD src0_sel:DWORD src1_sel:WORD_1
	v_mul_u32_u24_e32 v8, 6, v57
	v_fma_f16 v9, v18, v3, -v9
	v_lshlrev_b32_e32 v58, 2, v8
	v_add_f16_e32 v33, v10, v4
	v_sub_f16_e32 v4, v10, v4
	v_add_f16_e32 v34, v26, v20
	v_sub_f16_e32 v26, v26, v20
	;; [unrolled: 2-line block ×4, first 2 shown]
	global_load_dwordx2 v[20:21], v58, s[10:11] offset:16
	global_load_dwordx4 v[8:11], v58, s[10:11]
	v_add_f16_e32 v58, v22, v55
	v_sub_f16_e32 v22, v55, v22
	v_add_lshl_u32 v55, v28, v29, 2
	ds_read2_b32 v[28:29], v49 offset1:49
	v_add_f16_e32 v59, v34, v31
	v_add_f16_e32 v60, v35, v33
	;; [unrolled: 1-line block ×4, first 2 shown]
	s_waitcnt lgkmcnt(0)
	v_add_f16_e32 v61, v28, v59
	v_add_f16_sdwa v28, v28, v60 dst_sel:DWORD dst_unused:UNUSED_PAD src0_sel:WORD_1 src1_sel:DWORD
	v_fma_f16 v59, v59, s16, v61
	v_fma_f16 v60, v60, s16, v28
	v_pack_b32_f16 v28, v61, v28
	v_sub_f16_e32 v61, v31, v18
	v_sub_f16_e32 v62, v33, v58
	;; [unrolled: 1-line block ×6, first 2 shown]
	v_add_f16_e32 v63, v24, v26
	v_sub_f16_e32 v24, v32, v24
	v_add_f16_e32 v65, v22, v6
	v_sub_f16_e32 v22, v4, v22
	v_mul_f16_e32 v61, 0x3a52, v61
	v_mul_f16_e32 v62, 0x3a52, v62
	;; [unrolled: 1-line block ×4, first 2 shown]
	v_add_f16_e32 v63, v63, v32
	v_add_f16_e32 v65, v65, v4
	v_fma_f16 v67, v18, s15, v61
	v_fma_f16 v68, v58, s15, v62
	;; [unrolled: 1-line block ×4, first 2 shown]
	v_add_f16_e32 v67, v67, v59
	v_add_f16_e32 v68, v68, v60
	v_fma_f16 v69, v63, s21, v69
	v_fma_f16 v70, v65, s21, v70
	v_add_f16_e32 v71, v70, v67
	v_sub_f16_e32 v72, v68, v69
	v_pack_b32_f16 v71, v71, v72
	v_sub_f16_e32 v26, v26, v32
	s_waitcnt lgkmcnt(0)
	; wave barrier
	ds_write2_b32 v55, v28, v71 offset1:7
	v_sub_f16_e32 v28, v34, v31
	v_sub_f16_e32 v4, v6, v4
	v_mul_f16_e32 v6, 0x2b26, v18
	v_fma_f16 v32, v26, s22, -v64
	v_mul_f16_e32 v26, 0xbb00, v26
	v_sub_f16_e32 v31, v35, v33
	v_fma_f16 v6, v28, s13, -v6
	v_fma_f16 v18, v28, s18, -v61
	v_mul_f16_e32 v28, 0x2b26, v58
	v_fma_f16 v24, v24, s17, v26
	v_fma_f16 v26, v4, s22, -v66
	v_mul_f16_e32 v4, 0xbb00, v4
	v_fma_f16 v28, v31, s13, -v28
	v_fma_f16 v31, v31, s18, -v62
	v_fma_f16 v4, v22, s17, v4
	v_add_f16_e32 v18, v18, v59
	v_add_f16_e32 v22, v28, v60
	v_add_f16_e32 v28, v31, v60
	v_fma_f16 v24, v63, s21, v24
	v_fma_f16 v4, v65, s21, v4
	v_add_f16_e32 v6, v6, v59
	v_fma_f16 v31, v63, s21, v32
	v_fma_f16 v26, v65, s21, v26
	v_add_f16_e32 v32, v4, v18
	v_sub_f16_e32 v33, v28, v24
	v_pack_b32_f16 v32, v32, v33
	v_sub_f16_e32 v33, v6, v26
	v_add_f16_e32 v34, v31, v22
	v_pack_b32_f16 v33, v33, v34
	ds_write2_b32 v55, v32, v33 offset0:14 offset1:21
	v_lshrrev_b32_e32 v32, 16, v27
	v_sub_f16_e32 v22, v22, v31
	v_sub_f16_e32 v4, v18, v4
	v_add_f16_e32 v18, v24, v28
	v_add_f16_e32 v6, v26, v6
	s_waitcnt vmcnt(0)
	v_mul_f16_sdwa v33, v32, v8 dst_sel:DWORD dst_unused:UNUSED_PAD src0_sel:DWORD src1_sel:WORD_1
	v_fma_f16 v33, v27, v8, -v33
	v_mul_f16_sdwa v27, v27, v8 dst_sel:DWORD dst_unused:UNUSED_PAD src0_sel:DWORD src1_sel:WORD_1
	v_fma_f16 v27, v32, v8, v27
	v_lshrrev_b32_e32 v32, 16, v25
	v_mul_f16_sdwa v34, v32, v9 dst_sel:DWORD dst_unused:UNUSED_PAD src0_sel:DWORD src1_sel:WORD_1
	v_fma_f16 v34, v25, v9, -v34
	v_mul_f16_sdwa v25, v25, v9 dst_sel:DWORD dst_unused:UNUSED_PAD src0_sel:DWORD src1_sel:WORD_1
	v_fma_f16 v25, v32, v9, v25
	v_lshrrev_b32_e32 v32, 16, v23
	v_mul_f16_sdwa v35, v32, v10 dst_sel:DWORD dst_unused:UNUSED_PAD src0_sel:DWORD src1_sel:WORD_1
	v_fma_f16 v35, v23, v10, -v35
	v_mul_f16_sdwa v23, v23, v10 dst_sel:DWORD dst_unused:UNUSED_PAD src0_sel:DWORD src1_sel:WORD_1
	v_fma_f16 v23, v32, v10, v23
	v_lshrrev_b32_e32 v32, 16, v19
	v_mul_f16_sdwa v58, v32, v11 dst_sel:DWORD dst_unused:UNUSED_PAD src0_sel:DWORD src1_sel:WORD_1
	v_fma_f16 v58, v19, v11, -v58
	v_mul_f16_sdwa v19, v19, v11 dst_sel:DWORD dst_unused:UNUSED_PAD src0_sel:DWORD src1_sel:WORD_1
	v_fma_f16 v19, v32, v11, v19
	v_lshrrev_b32_e32 v32, 16, v7
	v_mul_f16_sdwa v59, v32, v20 dst_sel:DWORD dst_unused:UNUSED_PAD src0_sel:DWORD src1_sel:WORD_1
	v_fma_f16 v59, v7, v20, -v59
	v_mul_f16_sdwa v7, v7, v20 dst_sel:DWORD dst_unused:UNUSED_PAD src0_sel:DWORD src1_sel:WORD_1
	v_fma_f16 v7, v32, v20, v7
	v_lshrrev_b32_e32 v32, 16, v5
	v_mul_f16_sdwa v60, v32, v21 dst_sel:DWORD dst_unused:UNUSED_PAD src0_sel:DWORD src1_sel:WORD_1
	v_fma_f16 v60, v5, v21, -v60
	v_mul_f16_sdwa v5, v5, v21 dst_sel:DWORD dst_unused:UNUSED_PAD src0_sel:DWORD src1_sel:WORD_1
	v_fma_f16 v5, v32, v21, v5
	v_add_f16_e32 v28, v33, v60
	v_sub_f16_e32 v31, v33, v60
	v_add_f16_e32 v32, v27, v5
	v_sub_f16_e32 v5, v27, v5
	;; [unrolled: 2-line block ×7, first 2 shown]
	v_sub_f16_e32 v28, v28, v25
	v_sub_f16_e32 v27, v25, v27
	v_add_f16_e32 v23, v25, v23
	v_add_f16_e32 v25, v34, v32
	v_sub_f16_e32 v60, v34, v32
	v_sub_f16_e32 v32, v32, v58
	v_sub_f16_e32 v34, v58, v34
	v_mul_f16_e32 v28, 0x3a52, v28
	v_mul_f16_e32 v63, 0x2b26, v27
	v_add_f16_e32 v25, v58, v25
	v_add_f16_e32 v58, v35, v33
	v_sub_f16_e32 v61, v35, v33
	v_sub_f16_e32 v33, v33, v31
	v_fma_f16 v27, v27, s15, v28
	v_fma_f16 v63, v59, s13, -v63
	v_fma_f16 v28, v59, s18, -v28
	v_mul_f16_e32 v32, 0x3a52, v32
	v_mul_f16_e32 v59, 0x2b26, v34
	v_sub_f16_e32 v35, v31, v35
	v_add_f16_e32 v31, v58, v31
	v_add_f16_e32 v58, v19, v7
	v_sub_f16_e32 v62, v19, v7
	v_sub_f16_e32 v7, v7, v5
	v_fma_f16 v34, v34, s15, v32
	v_fma_f16 v59, v60, s13, -v59
	v_fma_f16 v32, v60, s18, -v32
	v_mul_f16_e32 v60, 0xb846, v61
	v_mul_f16_e32 v61, 0xbb00, v33
	v_sub_f16_e32 v19, v5, v19
	v_add_f16_e32 v5, v58, v5
	v_add_f16_e32 v58, v29, v23
	v_add_f16_sdwa v29, v29, v25 dst_sel:DWORD dst_unused:UNUSED_PAD src0_sel:WORD_1 src1_sel:DWORD
	v_fma_f16 v33, v33, s22, -v60
	v_fma_f16 v60, v35, s12, v60
	v_fma_f16 v35, v35, s17, v61
	v_mul_f16_e32 v61, 0xb846, v62
	v_mul_f16_e32 v62, 0xbb00, v7
	v_sub_f16_e32 v24, v67, v70
	v_add_f16_e32 v26, v69, v68
	v_fma_f16 v7, v7, s22, -v61
	v_fma_f16 v61, v19, s12, v61
	v_fma_f16 v19, v19, s17, v62
	;; [unrolled: 1-line block ×4, first 2 shown]
	v_pack_b32_f16 v6, v6, v22
	v_pack_b32_f16 v4, v4, v18
	v_add_f16_e32 v27, v27, v23
	v_add_f16_e32 v62, v63, v23
	;; [unrolled: 1-line block ×6, first 2 shown]
	v_fma_f16 v32, v31, s21, v60
	v_fma_f16 v33, v31, s21, v33
	;; [unrolled: 1-line block ×6, first 2 shown]
	ds_write2_b32 v55, v6, v4 offset0:28 offset1:35
	v_pack_b32_f16 v4, v24, v26
	v_add_f16_e32 v59, v33, v34
	v_sub_f16_e32 v33, v34, v33
	v_add_f16_e32 v34, v5, v23
	v_sub_f16_e32 v5, v23, v5
	v_sub_f16_e32 v23, v25, v31
	v_add_f16_e32 v25, v31, v25
	v_add_f16_e32 v31, v35, v27
	v_sub_f16_e32 v27, v27, v35
	v_sub_f16_e32 v35, v28, v32
	ds_write_b32 v55, v4 offset:168
	v_mul_u32_u24_e32 v4, 49, v30
	v_sub_f16_e32 v19, v62, v7
	v_add_lshl_u32 v57, v4, v57, 2
	v_pack_b32_f16 v4, v58, v29
	v_pack_b32_f16 v6, v31, v35
	v_add_f16_e32 v7, v7, v62
	ds_write2_b32 v57, v4, v6 offset1:7
	v_pack_b32_f16 v4, v34, v23
	v_pack_b32_f16 v6, v19, v59
	v_add_f16_e32 v28, v32, v28
	ds_write2_b32 v57, v4, v6 offset0:14 offset1:21
	v_pack_b32_f16 v4, v7, v33
	v_pack_b32_f16 v5, v5, v25
	ds_write2_b32 v57, v4, v5 offset0:28 offset1:35
	v_pack_b32_f16 v4, v27, v28
	v_mad_u64_u32 v[22:23], s[10:11], v12, 24, s[10:11]
	ds_write_b32 v57, v4 offset:168
	s_waitcnt lgkmcnt(0)
	; wave barrier
	s_waitcnt lgkmcnt(0)
	global_load_dwordx4 v[4:7], v[22:23], off offset:168
	global_load_dwordx2 v[18:19], v[22:23], off offset:184
	ds_read2_b32 v[28:29], v49 offset0:98 offset1:147
	ds_read2_b32 v[26:27], v49 offset0:196 offset1:245
	;; [unrolled: 1-line block ×3, first 2 shown]
	s_mul_i32 s10, s5, 0x188
	s_waitcnt lgkmcnt(2)
	v_lshrrev_b32_e32 v30, 16, v28
	s_waitcnt lgkmcnt(1)
	v_lshrrev_b32_e32 v32, 16, v26
	;; [unrolled: 2-line block ×3, first 2 shown]
	s_waitcnt vmcnt(1)
	v_mul_f16_sdwa v33, v30, v4 dst_sel:DWORD dst_unused:UNUSED_PAD src0_sel:DWORD src1_sel:WORD_1
	v_fma_f16 v33, v28, v4, -v33
	v_mul_f16_sdwa v28, v28, v4 dst_sel:DWORD dst_unused:UNUSED_PAD src0_sel:DWORD src1_sel:WORD_1
	v_fma_f16 v28, v30, v4, v28
	s_waitcnt vmcnt(0)
	v_mul_f16_sdwa v30, v31, v19 dst_sel:DWORD dst_unused:UNUSED_PAD src0_sel:DWORD src1_sel:WORD_1
	v_fma_f16 v30, v24, v19, -v30
	v_mul_f16_sdwa v24, v24, v19 dst_sel:DWORD dst_unused:UNUSED_PAD src0_sel:DWORD src1_sel:WORD_1
	v_fma_f16 v24, v31, v19, v24
	v_add_f16_e32 v60, v33, v30
	v_sub_f16_e32 v61, v33, v30
	ds_read2_b32 v[30:31], v51 offset0:106 offset1:155
	v_add_f16_e32 v62, v28, v24
	v_sub_f16_e32 v24, v28, v24
	v_mul_f16_sdwa v28, v26, v5 dst_sel:DWORD dst_unused:UNUSED_PAD src0_sel:DWORD src1_sel:WORD_1
	v_fma_f16 v28, v32, v5, v28
	v_mul_f16_sdwa v32, v32, v5 dst_sel:DWORD dst_unused:UNUSED_PAD src0_sel:DWORD src1_sel:WORD_1
	v_fma_f16 v26, v26, v5, -v32
	s_waitcnt lgkmcnt(0)
	v_lshrrev_b32_e32 v32, 16, v30
	v_mul_f16_sdwa v33, v30, v18 dst_sel:DWORD dst_unused:UNUSED_PAD src0_sel:DWORD src1_sel:WORD_1
	v_fma_f16 v34, v32, v18, v33
	v_mul_f16_sdwa v32, v32, v18 dst_sel:DWORD dst_unused:UNUSED_PAD src0_sel:DWORD src1_sel:WORD_1
	v_fma_f16 v30, v30, v18, -v32
	ds_read2_b32 v[32:33], v53 offset0:38 offset1:87
	v_add_f16_e32 v63, v26, v30
	v_sub_f16_e32 v26, v26, v30
	v_add_f16_e32 v30, v28, v34
	v_sub_f16_e32 v28, v28, v34
	ds_read2_b32 v[34:35], v53 offset0:136 offset1:185
	s_waitcnt lgkmcnt(1)
	v_lshrrev_b32_e32 v58, 16, v32
	v_mul_f16_sdwa v59, v32, v6 dst_sel:DWORD dst_unused:UNUSED_PAD src0_sel:DWORD src1_sel:WORD_1
	v_fma_f16 v59, v58, v6, v59
	v_mul_f16_sdwa v58, v58, v6 dst_sel:DWORD dst_unused:UNUSED_PAD src0_sel:DWORD src1_sel:WORD_1
	v_fma_f16 v32, v32, v6, -v58
	s_waitcnt lgkmcnt(0)
	v_lshrrev_b32_e32 v58, 16, v34
	v_mul_f16_sdwa v64, v34, v7 dst_sel:DWORD dst_unused:UNUSED_PAD src0_sel:DWORD src1_sel:WORD_1
	v_fma_f16 v64, v58, v7, v64
	v_mul_f16_sdwa v58, v58, v7 dst_sel:DWORD dst_unused:UNUSED_PAD src0_sel:DWORD src1_sel:WORD_1
	v_fma_f16 v34, v34, v7, -v58
	v_add_f16_e32 v65, v32, v34
	v_sub_f16_e32 v32, v34, v32
	v_add_f16_e32 v34, v59, v64
	v_sub_f16_e32 v64, v64, v59
	ds_read2_b32 v[58:59], v49 offset1:49
	v_add_f16_e32 v66, v63, v60
	v_add_f16_e32 v67, v30, v62
	v_add_f16_e32 v66, v65, v66
	v_add_f16_e32 v67, v34, v67
	s_waitcnt lgkmcnt(0)
	v_add_f16_e32 v68, v58, v66
	v_add_f16_sdwa v58, v58, v67 dst_sel:DWORD dst_unused:UNUSED_PAD src0_sel:WORD_1 src1_sel:DWORD
	v_fma_f16 v66, v66, s16, v68
	v_fma_f16 v67, v67, s16, v58
	v_pack_b32_f16 v58, v68, v58
	v_sub_f16_e32 v68, v60, v65
	v_sub_f16_e32 v69, v62, v34
	;; [unrolled: 1-line block ×6, first 2 shown]
	v_add_f16_e32 v70, v32, v26
	v_sub_f16_e32 v32, v61, v32
	v_add_f16_e32 v72, v64, v28
	v_sub_f16_e32 v64, v24, v64
	v_mul_f16_e32 v68, 0x3a52, v68
	v_mul_f16_e32 v69, 0x3a52, v69
	;; [unrolled: 1-line block ×4, first 2 shown]
	v_add_f16_e32 v70, v70, v61
	v_add_f16_e32 v72, v72, v24
	v_fma_f16 v74, v65, s15, v68
	v_fma_f16 v75, v34, s15, v69
	;; [unrolled: 1-line block ×4, first 2 shown]
	v_add_f16_e32 v74, v74, v66
	v_add_f16_e32 v75, v75, v67
	v_fma_f16 v76, v70, s21, v76
	v_fma_f16 v77, v72, s21, v77
	v_add_f16_e32 v78, v77, v74
	v_sub_f16_e32 v79, v75, v76
	v_pack_b32_f16 v78, v78, v79
	v_sub_f16_e32 v26, v26, v61
	s_waitcnt lgkmcnt(0)
	; wave barrier
	ds_write2_b32 v49, v58, v78 offset1:49
	v_sub_f16_e32 v58, v63, v60
	v_sub_f16_e32 v24, v28, v24
	v_fma_f16 v60, v26, s22, -v71
	v_mul_f16_e32 v26, 0xbb00, v26
	v_sub_f16_e32 v30, v30, v62
	v_mul_f16_e32 v28, 0x2b26, v65
	v_mul_f16_e32 v34, 0x2b26, v34
	v_fma_f16 v26, v32, s17, v26
	v_fma_f16 v32, v24, s22, -v73
	v_mul_f16_e32 v24, 0xbb00, v24
	v_fma_f16 v28, v58, s13, -v28
	v_fma_f16 v58, v58, s18, -v68
	;; [unrolled: 1-line block ×4, first 2 shown]
	v_fma_f16 v24, v64, s17, v24
	v_add_f16_e32 v58, v58, v66
	v_add_f16_e32 v30, v30, v67
	v_fma_f16 v26, v70, s21, v26
	v_fma_f16 v24, v72, s21, v24
	v_add_f16_e32 v28, v28, v66
	v_add_f16_e32 v34, v34, v67
	v_fma_f16 v60, v70, s21, v60
	v_fma_f16 v32, v72, s21, v32
	v_add_f16_e32 v61, v24, v58
	v_sub_f16_e32 v62, v30, v26
	v_pack_b32_f16 v61, v61, v62
	v_sub_f16_e32 v62, v28, v32
	v_add_f16_e32 v28, v32, v28
	v_sub_f16_e32 v32, v34, v60
	v_sub_f16_e32 v24, v58, v24
	v_add_f16_e32 v26, v26, v30
	v_pack_b32_f16 v28, v28, v32
	v_pack_b32_f16 v24, v24, v26
	ds_write2_b32 v49, v28, v24 offset0:196 offset1:245
	v_lshrrev_b32_e32 v24, 16, v29
	v_mul_f16_sdwa v28, v29, v4 dst_sel:DWORD dst_unused:UNUSED_PAD src0_sel:DWORD src1_sel:WORD_1
	v_mul_f16_sdwa v26, v24, v4 dst_sel:DWORD dst_unused:UNUSED_PAD src0_sel:DWORD src1_sel:WORD_1
	v_fma_f16 v24, v24, v4, v28
	v_lshrrev_b32_e32 v28, 16, v27
	v_fma_f16 v26, v29, v4, -v26
	v_mul_f16_sdwa v29, v28, v5 dst_sel:DWORD dst_unused:UNUSED_PAD src0_sel:DWORD src1_sel:WORD_1
	v_fma_f16 v29, v27, v5, -v29
	v_mul_f16_sdwa v27, v27, v5 dst_sel:DWORD dst_unused:UNUSED_PAD src0_sel:DWORD src1_sel:WORD_1
	v_fma_f16 v27, v28, v5, v27
	v_lshrrev_b32_e32 v28, 16, v33
	v_mul_f16_sdwa v32, v33, v6 dst_sel:DWORD dst_unused:UNUSED_PAD src0_sel:DWORD src1_sel:WORD_1
	v_add_f16_e32 v63, v60, v34
	v_mul_f16_sdwa v30, v28, v6 dst_sel:DWORD dst_unused:UNUSED_PAD src0_sel:DWORD src1_sel:WORD_1
	v_fma_f16 v28, v28, v6, v32
	v_lshrrev_b32_e32 v32, 16, v35
	v_mul_f16_sdwa v34, v35, v7 dst_sel:DWORD dst_unused:UNUSED_PAD src0_sel:DWORD src1_sel:WORD_1
	v_fma_f16 v30, v33, v6, -v30
	v_mul_f16_sdwa v33, v32, v7 dst_sel:DWORD dst_unused:UNUSED_PAD src0_sel:DWORD src1_sel:WORD_1
	v_fma_f16 v32, v32, v7, v34
	v_lshrrev_b32_e32 v34, 16, v31
	v_fma_f16 v33, v35, v7, -v33
	v_mul_f16_sdwa v35, v34, v18 dst_sel:DWORD dst_unused:UNUSED_PAD src0_sel:DWORD src1_sel:WORD_1
	v_fma_f16 v35, v31, v18, -v35
	v_mul_f16_sdwa v31, v31, v18 dst_sel:DWORD dst_unused:UNUSED_PAD src0_sel:DWORD src1_sel:WORD_1
	v_fma_f16 v31, v34, v18, v31
	v_lshrrev_b32_e32 v34, 16, v25
	v_mul_f16_sdwa v58, v34, v19 dst_sel:DWORD dst_unused:UNUSED_PAD src0_sel:DWORD src1_sel:WORD_1
	v_fma_f16 v58, v25, v19, -v58
	v_mul_f16_sdwa v25, v25, v19 dst_sel:DWORD dst_unused:UNUSED_PAD src0_sel:DWORD src1_sel:WORD_1
	v_pack_b32_f16 v62, v62, v63
	v_fma_f16 v25, v34, v19, v25
	ds_write2_b32 v49, v61, v62 offset0:98 offset1:147
	v_add_f16_e32 v61, v26, v58
	v_add_f16_e32 v62, v29, v35
	;; [unrolled: 1-line block ×10, first 2 shown]
	v_sub_f16_e32 v34, v74, v77
	v_add_f16_e32 v60, v76, v75
	v_add_f16_e32 v69, v59, v64
	v_add_f16_sdwa v59, v59, v68 dst_sel:DWORD dst_unused:UNUSED_PAD src0_sel:WORD_1 src1_sel:DWORD
	v_pack_b32_f16 v34, v34, v60
	v_pack_b32_f16 v60, v69, v59
	v_sub_f16_e32 v27, v27, v31
	v_sub_f16_e32 v28, v32, v28
	;; [unrolled: 1-line block ×4, first 2 shown]
	ds_write2_b32 v53, v34, v60 offset0:38 offset1:87
	v_sub_f16_e32 v26, v26, v58
	v_sub_f16_e32 v24, v24, v25
	;; [unrolled: 1-line block ×7, first 2 shown]
	v_mul_f16_e32 v31, 0x3a52, v31
	v_mul_f16_e32 v62, 0x2b26, v32
	v_sub_f16_e32 v33, v66, v65
	v_add_f16_e32 v58, v29, v25
	v_sub_f16_e32 v60, v29, v25
	v_sub_f16_e32 v25, v25, v26
	v_fma_f16 v32, v32, s15, v31
	v_fma_f16 v62, v30, s13, -v62
	v_fma_f16 v30, v30, s18, -v31
	v_mul_f16_e32 v31, 0x3a52, v34
	v_mul_f16_e32 v34, 0x2b26, v35
	v_sub_f16_e32 v29, v26, v29
	v_sub_f16_e32 v61, v28, v27
	v_fma_f16 v35, v35, s15, v31
	v_fma_f16 v34, v33, s13, -v34
	v_fma_f16 v31, v33, s18, -v31
	v_mul_f16_e32 v33, 0xb846, v60
	v_mul_f16_e32 v60, 0xbb00, v25
	v_add_f16_e32 v26, v58, v26
	v_add_f16_e32 v58, v28, v27
	v_sub_f16_e32 v27, v27, v24
	v_fma_f16 v25, v25, s22, -v33
	v_fma_f16 v33, v29, s12, v33
	v_fma_f16 v29, v29, s17, v60
	v_mul_f16_e32 v60, 0xb846, v61
	v_sub_f16_e32 v28, v24, v28
	v_add_f16_e32 v24, v58, v24
	v_fma_f16 v58, v64, s16, v69
	v_fma_f16 v59, v68, s16, v59
	v_mul_f16_e32 v61, 0xbb00, v27
	v_fma_f16 v27, v27, s22, -v60
	v_fma_f16 v60, v28, s12, v60
	v_fma_f16 v28, v28, s17, v61
	v_add_f16_e32 v61, v62, v58
	v_add_f16_e32 v34, v34, v59
	v_fma_f16 v25, v26, s21, v25
	v_fma_f16 v27, v24, s21, v27
	v_add_f16_e32 v32, v32, v58
	v_add_f16_e32 v30, v30, v58
	;; [unrolled: 1-line block ×4, first 2 shown]
	v_fma_f16 v33, v26, s21, v33
	v_fma_f16 v26, v26, s21, v29
	;; [unrolled: 1-line block ×4, first 2 shown]
	v_sub_f16_e32 v28, v61, v27
	v_add_f16_e32 v27, v27, v61
	v_add_f16_e32 v58, v25, v34
	v_sub_f16_e32 v25, v34, v25
	v_add_f16_e32 v34, v24, v30
	v_sub_f16_e32 v24, v30, v24
	v_sub_f16_e32 v30, v31, v26
	v_add_f16_e32 v26, v26, v31
	v_add_f16_e32 v31, v29, v32
	v_sub_f16_e32 v29, v32, v29
	v_sub_f16_e32 v32, v35, v33
	v_add_f16_e32 v33, v33, v35
	v_pack_b32_f16 v28, v28, v58
	v_pack_b32_f16 v25, v27, v25
	ds_write2_b32 v51, v28, v25 offset0:106 offset1:155
	v_pack_b32_f16 v24, v24, v26
	v_pack_b32_f16 v25, v29, v33
	ds_write2_b32 v13, v24, v25 offset0:76 offset1:125
	v_mul_hi_i32_i24_e32 v25, 0xffffffec, v12
	v_mul_i32_i24_e32 v24, 0xffffffec, v12
	v_pack_b32_f16 v31, v31, v32
	v_pack_b32_f16 v30, v34, v30
	v_lshl_add_u64 v[28:29], v[22:23], 0, v[24:25]
	ds_write2_b32 v53, v31, v30 offset0:136 offset1:185
	s_waitcnt lgkmcnt(0)
	; wave barrier
	s_waitcnt lgkmcnt(0)
	global_load_dword v22, v[28:29], off offset:1344
	global_load_dword v26, v[28:29], off offset:1540
	;; [unrolled: 1-line block ×6, first 2 shown]
	ds_read2_b32 v[30:31], v53 offset0:38 offset1:87
	ds_read2_b32 v[32:33], v53 offset0:136 offset1:185
	global_load_dword v28, v[28:29], off offset:2520
	s_waitcnt lgkmcnt(1)
	v_lshrrev_b32_e32 v34, 16, v31
	s_waitcnt lgkmcnt(0)
	v_lshrrev_b32_e32 v58, 16, v32
	s_waitcnt vmcnt(6)
	v_mul_f16_sdwa v29, v31, v22 dst_sel:DWORD dst_unused:UNUSED_PAD src0_sel:DWORD src1_sel:WORD_1
	v_fma_f16 v29, v34, v22, v29
	v_mul_f16_sdwa v34, v34, v22 dst_sel:DWORD dst_unused:UNUSED_PAD src0_sel:DWORD src1_sel:WORD_1
	v_fma_f16 v31, v31, v22, -v34
	ds_read2_b32 v[34:35], v49 offset1:49
	s_waitcnt vmcnt(5)
	v_mul_f16_sdwa v59, v32, v26 dst_sel:DWORD dst_unused:UNUSED_PAD src0_sel:DWORD src1_sel:WORD_1
	v_fma_f16 v64, v58, v26, v59
	v_mul_f16_sdwa v58, v58, v26 dst_sel:DWORD dst_unused:UNUSED_PAD src0_sel:DWORD src1_sel:WORD_1
	v_fma_f16 v32, v32, v26, -v58
	s_waitcnt lgkmcnt(0)
	v_lshrrev_b32_e32 v58, 16, v34
	v_sub_f16_e32 v31, v34, v31
	v_sub_f16_e32 v32, v35, v32
	;; [unrolled: 1-line block ×3, first 2 shown]
	v_lshrrev_b32_e32 v65, 16, v35
	v_fma_f16 v34, v34, 2.0, -v31
	v_fma_f16 v66, v35, 2.0, -v32
	;; [unrolled: 1-line block ×3, first 2 shown]
	v_pack_b32_f16 v29, v31, v29
	v_pack_b32_f16 v67, v34, v35
	ds_read2_b32 v[34:35], v49 offset0:98 offset1:147
	ds_read2_b32 v[58:59], v51 offset0:106 offset1:155
	;; [unrolled: 1-line block ×4, first 2 shown]
	ds_write_b32 v49, v29 offset:1372
	v_sub_f16_e32 v29, v65, v64
	v_fma_f16 v31, v65, 2.0, -v29
	v_pack_b32_f16 v31, v66, v31
	ds_write2_b32 v49, v67, v31 offset1:49
	v_lshrrev_b32_e32 v31, 16, v33
	s_waitcnt vmcnt(4)
	v_mul_f16_sdwa v64, v31, v27 dst_sel:DWORD dst_unused:UNUSED_PAD src0_sel:DWORD src1_sel:WORD_1
	v_fma_f16 v64, v33, v27, -v64
	v_mul_f16_sdwa v33, v33, v27 dst_sel:DWORD dst_unused:UNUSED_PAD src0_sel:DWORD src1_sel:WORD_1
	v_fma_f16 v31, v31, v27, v33
	s_waitcnt lgkmcnt(5)
	v_lshrrev_b32_e32 v33, 16, v34
	v_pack_b32_f16 v29, v32, v29
	v_sub_f16_e32 v32, v34, v64
	v_sub_f16_e32 v31, v33, v31
	v_pack_b32_f16 v64, v32, v31
	ds_write2_b32 v53, v29, v64 offset0:136 offset1:185
	v_fma_f16 v29, v33, 2.0, -v31
	s_waitcnt lgkmcnt(5)
	v_lshrrev_b32_e32 v31, 16, v58
	s_waitcnt vmcnt(3)
	v_mul_f16_sdwa v33, v58, v23 dst_sel:DWORD dst_unused:UNUSED_PAD src0_sel:DWORD src1_sel:WORD_1
	v_fma_f16 v33, v31, v23, v33
	v_mul_f16_sdwa v31, v31, v23 dst_sel:DWORD dst_unused:UNUSED_PAD src0_sel:DWORD src1_sel:WORD_1
	v_fma_f16 v31, v58, v23, -v31
	v_fma_f16 v32, v34, 2.0, -v32
	v_lshrrev_b32_e32 v34, 16, v35
	v_sub_f16_e32 v31, v35, v31
	v_pack_b32_f16 v29, v32, v29
	v_sub_f16_e32 v32, v34, v33
	v_fma_f16 v35, v35, 2.0, -v31
	v_fma_f16 v33, v34, 2.0, -v32
	v_pack_b32_f16 v33, v35, v33
	ds_write2_b32 v49, v29, v33 offset0:98 offset1:147
	v_lshrrev_b32_e32 v29, 16, v59
	s_waitcnt vmcnt(2)
	v_mul_f16_sdwa v33, v29, v24 dst_sel:DWORD dst_unused:UNUSED_PAD src0_sel:DWORD src1_sel:WORD_1
	v_fma_f16 v33, v59, v24, -v33
	v_mul_f16_sdwa v34, v59, v24 dst_sel:DWORD dst_unused:UNUSED_PAD src0_sel:DWORD src1_sel:WORD_1
	v_fma_f16 v29, v29, v24, v34
	v_pack_b32_f16 v31, v31, v32
	s_waitcnt lgkmcnt(5)
	v_sub_f16_e32 v32, v60, v33
	v_lshrrev_b32_e32 v33, 16, v60
	v_sub_f16_e32 v29, v33, v29
	v_pack_b32_f16 v34, v32, v29
	ds_write2_b32 v51, v31, v34 offset0:106 offset1:155
	v_fma_f16 v29, v33, 2.0, -v29
	s_waitcnt lgkmcnt(5)
	v_lshrrev_b32_e32 v31, 16, v62
	s_waitcnt vmcnt(1)
	v_mul_f16_sdwa v33, v62, v25 dst_sel:DWORD dst_unused:UNUSED_PAD src0_sel:DWORD src1_sel:WORD_1
	v_fma_f16 v33, v31, v25, v33
	v_mul_f16_sdwa v31, v31, v25 dst_sel:DWORD dst_unused:UNUSED_PAD src0_sel:DWORD src1_sel:WORD_1
	v_fma_f16 v31, v62, v25, -v31
	v_fma_f16 v32, v60, 2.0, -v32
	v_lshrrev_b32_e32 v34, 16, v61
	v_sub_f16_e32 v31, v61, v31
	v_pack_b32_f16 v29, v32, v29
	v_sub_f16_e32 v32, v34, v33
	v_fma_f16 v35, v61, 2.0, -v31
	v_fma_f16 v33, v34, 2.0, -v32
	v_pack_b32_f16 v33, v35, v33
	ds_write2_b32 v49, v29, v33 offset0:196 offset1:245
	v_lshrrev_b32_e32 v29, 16, v63
	s_waitcnt vmcnt(0)
	v_mul_f16_sdwa v33, v29, v28 dst_sel:DWORD dst_unused:UNUSED_PAD src0_sel:DWORD src1_sel:WORD_1
	v_mul_f16_sdwa v34, v63, v28 dst_sel:DWORD dst_unused:UNUSED_PAD src0_sel:DWORD src1_sel:WORD_1
	v_fma_f16 v33, v63, v28, -v33
	v_fma_f16 v29, v29, v28, v34
	v_lshrrev_b32_e32 v34, 16, v30
	v_sub_f16_e32 v33, v30, v33
	v_sub_f16_e32 v29, v34, v29
	v_fma_f16 v30, v30, 2.0, -v33
	v_fma_f16 v34, v34, 2.0, -v29
	v_pack_b32_f16 v31, v31, v32
	v_pack_b32_f16 v30, v30, v34
	;; [unrolled: 1-line block ×3, first 2 shown]
	ds_write_b32 v49, v30 offset:1176
	ds_write2_b32 v13, v31, v29 offset0:76 offset1:125
	s_waitcnt lgkmcnt(0)
	; wave barrier
	s_waitcnt lgkmcnt(0)
	global_load_dword v29, v49, s[8:9] offset:2744
	global_load_dword v58, v49, s[2:3] offset:1176
	;; [unrolled: 1-line block ×10, first 2 shown]
	ds_read2_b32 v[30:31], v49 offset1:49
	global_load_dword v67, v49, s[2:3] offset:1960
	global_load_dword v69, v49, s[2:3] offset:2156
	;; [unrolled: 1-line block ×3, first 2 shown]
	s_movk_i32 s8, 0x3846
	s_waitcnt lgkmcnt(0)
	v_lshrrev_b32_e32 v32, 16, v30
	s_mov_b32 s9, 0x8000
	s_waitcnt vmcnt(12)
	v_mul_f16_sdwa v33, v30, v29 dst_sel:DWORD dst_unused:UNUSED_PAD src0_sel:DWORD src1_sel:WORD_1
	v_fma_f16 v33, v32, v29, v33
	v_mul_f16_sdwa v32, v32, v29 dst_sel:DWORD dst_unused:UNUSED_PAD src0_sel:DWORD src1_sel:WORD_1
	v_fma_f16 v29, v30, v29, -v32
	v_pack_b32_f16 v29, v29, v33
	ds_write_b32 v49, v29
	global_load_dword v29, v49, s[2:3] offset:2352
	ds_read2_b32 v[32:33], v53 offset0:38 offset1:87
	ds_read2_b32 v[34:35], v49 offset0:196 offset1:245
	s_mov_b32 s2, 0xb70e
	s_mov_b32 s3, 0xbb00
	s_waitcnt lgkmcnt(1)
	v_lshrrev_b32_e32 v30, 16, v32
	s_waitcnt vmcnt(12)
	v_mul_f16_sdwa v70, v32, v58 dst_sel:DWORD dst_unused:UNUSED_PAD src0_sel:DWORD src1_sel:WORD_1
	v_fma_f16 v70, v30, v58, v70
	v_mul_f16_sdwa v30, v30, v58 dst_sel:DWORD dst_unused:UNUSED_PAD src0_sel:DWORD src1_sel:WORD_1
	v_fma_f16 v30, v32, v58, -v30
	s_waitcnt lgkmcnt(0)
	v_lshrrev_b32_e32 v32, 16, v35
	s_waitcnt vmcnt(9)
	v_mul_f16_sdwa v58, v35, v61 dst_sel:DWORD dst_unused:UNUSED_PAD src0_sel:DWORD src1_sel:WORD_1
	v_fma_f16 v58, v32, v61, v58
	v_mul_f16_sdwa v32, v32, v61 dst_sel:DWORD dst_unused:UNUSED_PAD src0_sel:DWORD src1_sel:WORD_1
	v_fma_f16 v32, v35, v61, -v32
	v_pack_b32_f16 v30, v30, v70
	v_pack_b32_f16 v32, v32, v58
	v_add_u32_e32 v35, 0x200, v49
	ds_write2_b32 v35, v32, v30 offset0:117 offset1:166
	v_lshrrev_b32_e32 v30, 16, v34
	s_waitcnt vmcnt(8)
	v_mul_f16_sdwa v32, v30, v62 dst_sel:DWORD dst_unused:UNUSED_PAD src0_sel:DWORD src1_sel:WORD_1
	v_fma_f16 v32, v34, v62, -v32
	v_mul_f16_sdwa v34, v34, v62 dst_sel:DWORD dst_unused:UNUSED_PAD src0_sel:DWORD src1_sel:WORD_1
	v_fma_f16 v30, v30, v62, v34
	ds_read2_b32 v[34:35], v49 offset0:98 offset1:147
	v_lshrrev_b32_e32 v58, 16, v31
	s_waitcnt vmcnt(7)
	v_mul_f16_sdwa v61, v58, v63 dst_sel:DWORD dst_unused:UNUSED_PAD src0_sel:DWORD src1_sel:WORD_1
	v_fma_f16 v61, v31, v63, -v61
	v_mul_f16_sdwa v31, v31, v63 dst_sel:DWORD dst_unused:UNUSED_PAD src0_sel:DWORD src1_sel:WORD_1
	v_fma_f16 v31, v58, v63, v31
	s_waitcnt lgkmcnt(0)
	v_lshrrev_b32_e32 v58, 16, v34
	s_waitcnt vmcnt(6)
	v_mul_f16_sdwa v62, v34, v64 dst_sel:DWORD dst_unused:UNUSED_PAD src0_sel:DWORD src1_sel:WORD_1
	v_fma_f16 v62, v58, v64, v62
	v_mul_f16_sdwa v58, v58, v64 dst_sel:DWORD dst_unused:UNUSED_PAD src0_sel:DWORD src1_sel:WORD_1
	v_fma_f16 v34, v34, v64, -v58
	v_pack_b32_f16 v34, v34, v62
	v_pack_b32_f16 v31, v61, v31
	ds_write2_b32 v49, v31, v34 offset0:49 offset1:98
	v_lshrrev_b32_e32 v31, 16, v35
	s_waitcnt vmcnt(5)
	v_mul_f16_sdwa v34, v31, v65 dst_sel:DWORD dst_unused:UNUSED_PAD src0_sel:DWORD src1_sel:WORD_1
	v_fma_f16 v34, v35, v65, -v34
	v_mul_f16_sdwa v35, v35, v65 dst_sel:DWORD dst_unused:UNUSED_PAD src0_sel:DWORD src1_sel:WORD_1
	v_fma_f16 v31, v31, v65, v35
	v_pack_b32_f16 v30, v32, v30
	v_pack_b32_f16 v31, v34, v31
	ds_write2_b32 v49, v31, v30 offset0:147 offset1:196
	ds_read2_b32 v[30:31], v53 offset0:136 offset1:185
	v_lshrrev_b32_e32 v32, 16, v33
	v_mul_f16_sdwa v34, v32, v59 dst_sel:DWORD dst_unused:UNUSED_PAD src0_sel:DWORD src1_sel:WORD_1
	v_fma_f16 v34, v33, v59, -v34
	v_mul_f16_sdwa v33, v33, v59 dst_sel:DWORD dst_unused:UNUSED_PAD src0_sel:DWORD src1_sel:WORD_1
	v_fma_f16 v32, v32, v59, v33
	s_waitcnt lgkmcnt(0)
	v_lshrrev_b32_e32 v33, 16, v30
	v_mul_f16_sdwa v35, v30, v60 dst_sel:DWORD dst_unused:UNUSED_PAD src0_sel:DWORD src1_sel:WORD_1
	v_fma_f16 v35, v33, v60, v35
	v_mul_f16_sdwa v33, v33, v60 dst_sel:DWORD dst_unused:UNUSED_PAD src0_sel:DWORD src1_sel:WORD_1
	v_fma_f16 v30, v30, v60, -v33
	v_pack_b32_f16 v30, v30, v35
	v_pack_b32_f16 v32, v34, v32
	ds_write2_b32 v53, v32, v30 offset0:87 offset1:136
	ds_read2_b32 v[32:33], v51 offset0:106 offset1:155
	v_lshrrev_b32_e32 v30, 16, v31
	s_waitcnt vmcnt(4)
	v_mul_f16_sdwa v34, v30, v66 dst_sel:DWORD dst_unused:UNUSED_PAD src0_sel:DWORD src1_sel:WORD_1
	v_fma_f16 v34, v31, v66, -v34
	v_mul_f16_sdwa v31, v31, v66 dst_sel:DWORD dst_unused:UNUSED_PAD src0_sel:DWORD src1_sel:WORD_1
	v_fma_f16 v30, v30, v66, v31
	s_waitcnt lgkmcnt(0)
	v_lshrrev_b32_e32 v31, 16, v32
	s_waitcnt vmcnt(3)
	v_mul_f16_sdwa v35, v32, v67 dst_sel:DWORD dst_unused:UNUSED_PAD src0_sel:DWORD src1_sel:WORD_1
	v_fma_f16 v35, v31, v67, v35
	v_mul_f16_sdwa v31, v31, v67 dst_sel:DWORD dst_unused:UNUSED_PAD src0_sel:DWORD src1_sel:WORD_1
	v_fma_f16 v31, v32, v67, -v31
	v_pack_b32_f16 v31, v31, v35
	v_pack_b32_f16 v30, v34, v30
	ds_write2_b32 v53, v30, v31 offset0:185 offset1:234
	ds_read2_b32 v[30:31], v13 offset0:76 offset1:125
	v_lshrrev_b32_e32 v32, 16, v33
	s_waitcnt vmcnt(2)
	v_mul_f16_sdwa v34, v32, v69 dst_sel:DWORD dst_unused:UNUSED_PAD src0_sel:DWORD src1_sel:WORD_1
	v_fma_f16 v34, v33, v69, -v34
	v_mul_f16_sdwa v33, v33, v69 dst_sel:DWORD dst_unused:UNUSED_PAD src0_sel:DWORD src1_sel:WORD_1
	v_fma_f16 v32, v32, v69, v33
	s_waitcnt lgkmcnt(0)
	v_lshrrev_b32_e32 v33, 16, v30
	s_waitcnt vmcnt(0)
	v_mul_f16_sdwa v35, v30, v29 dst_sel:DWORD dst_unused:UNUSED_PAD src0_sel:DWORD src1_sel:WORD_1
	v_fma_f16 v35, v33, v29, v35
	v_mul_f16_sdwa v33, v33, v29 dst_sel:DWORD dst_unused:UNUSED_PAD src0_sel:DWORD src1_sel:WORD_1
	v_fma_f16 v29, v30, v29, -v33
	v_pack_b32_f16 v29, v29, v35
	v_pack_b32_f16 v30, v34, v32
	ds_write2_b32 v13, v30, v29 offset0:27 offset1:76
	v_lshrrev_b32_e32 v29, 16, v31
	v_mul_f16_sdwa v30, v29, v68 dst_sel:DWORD dst_unused:UNUSED_PAD src0_sel:DWORD src1_sel:WORD_1
	v_fma_f16 v30, v31, v68, -v30
	v_mul_f16_sdwa v31, v31, v68 dst_sel:DWORD dst_unused:UNUSED_PAD src0_sel:DWORD src1_sel:WORD_1
	v_fma_f16 v29, v29, v68, v31
	v_pack_b32_f16 v29, v30, v29
	ds_write_b32 v49, v29 offset:2548
	s_waitcnt lgkmcnt(0)
	; wave barrier
	s_waitcnt lgkmcnt(0)
	ds_read2_b32 v[30:31], v49 offset0:98 offset1:147
	ds_read2_b32 v[32:33], v13 offset0:76 offset1:125
	ds_read2_b32 v[34:35], v49 offset0:196 offset1:245
	ds_read2_b32 v[58:59], v51 offset0:106 offset1:155
	s_waitcnt lgkmcnt(2)
	v_pk_add_f16 v29, v31, v33
	v_pk_add_f16 v60, v30, v32
	v_pk_add_f16 v61, v30, v32 neg_lo:[0,1] neg_hi:[0,1]
	v_pk_add_f16 v62, v31, v33 neg_lo:[0,1] neg_hi:[0,1]
	ds_read2_b32 v[30:31], v53 offset0:38 offset1:87
	ds_read2_b32 v[32:33], v53 offset0:136 offset1:185
	s_waitcnt lgkmcnt(2)
	v_pk_add_f16 v63, v35, v59
	v_pk_add_f16 v64, v34, v58
	v_pk_add_f16 v34, v34, v58 neg_lo:[0,1] neg_hi:[0,1]
	v_pk_add_f16 v35, v35, v59 neg_lo:[0,1] neg_hi:[0,1]
	s_waitcnt lgkmcnt(0)
	v_pk_add_f16 v58, v31, v33
	v_pk_add_f16 v59, v30, v32
	v_pk_add_f16 v32, v32, v30 neg_lo:[0,1] neg_hi:[0,1]
	v_pk_add_f16 v33, v33, v31 neg_lo:[0,1] neg_hi:[0,1]
	ds_read2_b32 v[30:31], v49 offset1:49
	v_pk_add_f16 v65, v64, v60
	v_pk_add_f16 v67, v60, v59 neg_lo:[0,1] neg_hi:[0,1]
	v_pk_add_f16 v65, v59, v65
	v_pk_add_f16 v59, v59, v64 neg_lo:[0,1] neg_hi:[0,1]
	v_pk_add_f16 v68, v61, v32 neg_lo:[0,1] neg_hi:[0,1]
	v_pk_add_f16 v66, v32, v34
	v_pk_mul_f16 v59, v59, s15 op_sel_hi:[1,0]
	v_pk_add_f16 v32, v32, v34 neg_lo:[0,1] neg_hi:[0,1]
	v_pk_mul_f16 v71, v68, s17 op_sel_hi:[1,0]
	v_pk_add_f16 v66, v66, v61
	s_waitcnt lgkmcnt(0)
	v_pk_add_f16 v30, v30, v65
	v_pk_mul_f16 v69, v67, s19 op_sel_hi:[1,0]
	v_alignbit_b32 v70, s0, v59, 16
	v_pk_fma_f16 v71, v32, s8, v71 op_sel_hi:[1,0,1]
	v_pk_fma_f16 v65, v65, s20, v30 op_sel_hi:[1,0,1] neg_lo:[1,0,0] neg_hi:[1,0,0]
	v_pk_fma_f16 v67, v67, s19, v59 op_sel_hi:[1,0,1]
	v_pk_add_f16 v70, v70, v69 op_sel:[0,1] op_sel_hi:[1,0]
	v_pk_fma_f16 v71, v66, s2, v71 op_sel_hi:[1,0,1]
	v_pk_add_f16 v67, v67, v65
	v_pk_add_f16 v70, v70, v65 op_sel:[0,1] op_sel_hi:[1,0]
	v_alignbit_b32 v72, s0, v71, 16
	v_pk_add_f16 v73, v67, v72
	v_pk_add_f16 v74, v70, v71 neg_lo:[0,1] neg_hi:[0,1]
	s_nop 0
	v_pack_b32_f16 v73, v73, v74
	; wave barrier
	ds_write2_b32 v56, v30, v73 offset1:1
	v_pk_add_f16 v30, v64, v60 neg_lo:[0,1] neg_hi:[0,1]
	v_pk_add_f16 v34, v34, v61 neg_lo:[0,1] neg_hi:[0,1]
	v_pk_mul_f16 v60, v30, s13 op_sel_hi:[1,0]
	v_pk_mul_f16 v61, v34, s3 op_sel_hi:[1,0]
	;; [unrolled: 1-line block ×3, first 2 shown]
	v_pk_add_f16 v60, v69, v60 op_sel:[1,1] op_sel_hi:[0,0] neg_lo:[1,1] neg_hi:[1,1]
	v_pk_fma_f16 v61, v68, s17, v61 op_sel_hi:[1,0,1] neg_lo:[1,0,1] neg_hi:[1,0,1]
	v_pk_fma_f16 v30, v30, s13, v59 op_sel_hi:[1,0,1] neg_lo:[0,0,1] neg_hi:[0,0,1]
	;; [unrolled: 1-line block ×3, first 2 shown]
	v_pk_add_f16 v60, v60, v65 op_sel:[0,1] op_sel_hi:[1,0]
	v_pk_fma_f16 v61, v66, s2, v61 op_sel_hi:[1,0,1]
	v_pk_add_f16 v30, v30, v65
	v_pk_fma_f16 v32, v66, s2, v32 op_sel_hi:[1,0,1]
	v_pk_add_f16 v64, v60, v61
	v_pk_add_f16 v60, v60, v61 neg_lo:[0,1] neg_hi:[0,1]
	v_pk_add_f16 v34, v30, v32 op_sel:[0,1] op_sel_hi:[1,0] neg_lo:[0,1] neg_hi:[0,1]
	v_pk_add_f16 v30, v30, v32 op_sel:[0,1] op_sel_hi:[1,0]
	v_alignbit_b32 v32, v60, v64, 16
	v_bfi_b32 v59, s14, v34, v30
	ds_write2_b32 v56, v32, v59 offset0:2 offset1:3
	v_bfi_b32 v30, s14, v30, v34
	v_alignbit_b32 v32, v64, v60, 16
	ds_write2_b32 v56, v30, v32 offset0:4 offset1:5
	v_pk_add_f16 v30, v67, v72 neg_lo:[0,1] neg_hi:[0,1]
	v_pk_add_f16 v32, v71, v70
	v_pk_add_f16 v34, v29, v58 neg_lo:[0,1] neg_hi:[0,1]
	v_pack_b32_f16 v30, v30, v32
	ds_write_b32 v56, v30 offset:24
	v_pk_add_f16 v30, v63, v29
	v_pk_add_f16 v56, v58, v63 neg_lo:[0,1] neg_hi:[0,1]
	v_pk_add_f16 v30, v58, v30
	v_pk_add_f16 v58, v62, v33 neg_lo:[0,1] neg_hi:[0,1]
	v_pk_add_f16 v32, v33, v35
	v_pk_mul_f16 v56, v56, s15 op_sel_hi:[1,0]
	v_pk_add_f16 v33, v33, v35 neg_lo:[0,1] neg_hi:[0,1]
	v_pk_mul_f16 v61, v58, s17 op_sel_hi:[1,0]
	v_pk_add_f16 v31, v31, v30
	v_pk_add_f16 v32, v32, v62
	v_pk_mul_f16 v59, v34, s19 op_sel_hi:[1,0]
	v_alignbit_b32 v60, s0, v56, 16
	v_pk_fma_f16 v61, v33, s8, v61 op_sel_hi:[1,0,1]
	v_pk_fma_f16 v30, v30, s20, v31 op_sel_hi:[1,0,1] neg_lo:[1,0,0] neg_hi:[1,0,0]
	v_pk_fma_f16 v34, v34, s19, v56 op_sel_hi:[1,0,1]
	v_pk_add_f16 v60, v60, v59 op_sel:[0,1] op_sel_hi:[1,0]
	v_pk_fma_f16 v61, v32, s2, v61 op_sel_hi:[1,0,1]
	v_pk_add_f16 v34, v34, v30
	v_pk_add_f16 v60, v60, v30 op_sel:[0,1] op_sel_hi:[1,0]
	v_alignbit_b32 v64, s0, v61, 16
	v_pk_add_f16 v65, v34, v64
	v_pk_add_f16 v66, v60, v61 neg_lo:[0,1] neg_hi:[0,1]
	v_pk_add_f16 v29, v63, v29 neg_lo:[0,1] neg_hi:[0,1]
	v_pack_b32_f16 v65, v65, v66
	ds_write2_b32 v54, v31, v65 offset1:1
	v_pk_add_f16 v31, v35, v62 neg_lo:[0,1] neg_hi:[0,1]
	v_pk_mul_f16 v35, v29, s13 op_sel_hi:[1,0]
	v_pk_mul_f16 v33, v33, s8 op_sel_hi:[1,0]
	v_pk_add_f16 v35, v59, v35 op_sel:[1,1] op_sel_hi:[0,0] neg_lo:[1,1] neg_hi:[1,1]
	v_pk_mul_f16 v59, v31, s3 op_sel_hi:[1,0]
	v_pk_fma_f16 v29, v29, s13, v56 op_sel_hi:[1,0,1] neg_lo:[0,0,1] neg_hi:[0,0,1]
	v_pk_fma_f16 v58, v58, s17, v59 op_sel_hi:[1,0,1] neg_lo:[1,0,1] neg_hi:[1,0,1]
	v_pk_fma_f16 v31, v31, s3, v33 op_sel_hi:[1,0,1] neg_lo:[0,0,1] neg_hi:[0,0,1]
	v_pk_add_f16 v35, v35, v30 op_sel:[0,1] op_sel_hi:[1,0]
	v_pk_fma_f16 v58, v32, s2, v58 op_sel_hi:[1,0,1]
	v_pk_add_f16 v29, v29, v30
	v_pk_fma_f16 v30, v32, s2, v31 op_sel_hi:[1,0,1]
	v_pk_add_f16 v59, v35, v58
	v_pk_add_f16 v35, v35, v58 neg_lo:[0,1] neg_hi:[0,1]
	v_pk_add_f16 v31, v29, v30 op_sel:[0,1] op_sel_hi:[1,0] neg_lo:[0,1] neg_hi:[0,1]
	v_pk_add_f16 v29, v29, v30 op_sel:[0,1] op_sel_hi:[1,0]
	v_pk_add_f16 v30, v34, v64 neg_lo:[0,1] neg_hi:[0,1]
	v_pk_add_f16 v33, v61, v60
	v_bfi_b32 v34, s14, v31, v29
	v_bfi_b32 v29, s14, v29, v31
	v_alignbit_b32 v31, v59, v35, 16
	v_alignbit_b32 v32, v35, v59, 16
	ds_write2_b32 v54, v29, v31 offset0:4 offset1:5
	v_pack_b32_f16 v29, v30, v33
	ds_write2_b32 v54, v32, v34 offset0:2 offset1:3
	ds_write_b32 v54, v29 offset:24
	s_waitcnt lgkmcnt(0)
	; wave barrier
	s_waitcnt lgkmcnt(0)
	ds_read2_b32 v[30:31], v49 offset0:98 offset1:147
	ds_read2_b32 v[32:33], v49 offset0:196 offset1:245
	s_load_dwordx2 s[0:1], s[0:1], 0x38
	s_movk_i32 s8, 0x40f
	s_waitcnt lgkmcnt(0)
	v_lshrrev_b32_e32 v29, 16, v30
	v_mul_f16_sdwa v34, v0, v29 dst_sel:DWORD dst_unused:UNUSED_PAD src0_sel:WORD_1 src1_sel:DWORD
	v_lshrrev_b32_e32 v54, 16, v32
	v_fma_f16 v56, v0, v30, v34
	v_mul_f16_sdwa v30, v0, v30 dst_sel:DWORD dst_unused:UNUSED_PAD src0_sel:WORD_1 src1_sel:DWORD
	v_fma_f16 v29, v0, v29, -v30
	ds_read2_b32 v[34:35], v53 offset0:38 offset1:87
	v_mul_f16_sdwa v0, v1, v54 dst_sel:DWORD dst_unused:UNUSED_PAD src0_sel:WORD_1 src1_sel:DWORD
	v_fma_f16 v30, v1, v32, v0
	v_mul_f16_sdwa v0, v1, v32 dst_sel:DWORD dst_unused:UNUSED_PAD src0_sel:WORD_1 src1_sel:DWORD
	v_fma_f16 v32, v1, v54, -v0
	ds_read2_b32 v[0:1], v53 offset0:136 offset1:185
	s_waitcnt lgkmcnt(1)
	v_lshrrev_b32_e32 v54, 16, v34
	v_mul_f16_sdwa v58, v2, v34 dst_sel:DWORD dst_unused:UNUSED_PAD src0_sel:WORD_1 src1_sel:DWORD
	v_fma_f16 v58, v2, v54, -v58
	v_mul_f16_sdwa v54, v2, v54 dst_sel:DWORD dst_unused:UNUSED_PAD src0_sel:WORD_1 src1_sel:DWORD
	v_fma_f16 v34, v2, v34, v54
	s_waitcnt lgkmcnt(0)
	v_lshrrev_b32_e32 v2, 16, v0
	v_mul_f16_sdwa v54, v3, v0 dst_sel:DWORD dst_unused:UNUSED_PAD src0_sel:WORD_1 src1_sel:DWORD
	v_fma_f16 v54, v3, v2, -v54
	v_mul_f16_sdwa v2, v3, v2 dst_sel:DWORD dst_unused:UNUSED_PAD src0_sel:WORD_1 src1_sel:DWORD
	v_fma_f16 v59, v3, v0, v2
	v_lshrrev_b32_e32 v0, 16, v31
	v_mul_f16_sdwa v2, v8, v0 dst_sel:DWORD dst_unused:UNUSED_PAD src0_sel:WORD_1 src1_sel:DWORD
	v_fma_f16 v60, v8, v31, v2
	v_mul_f16_sdwa v2, v8, v31 dst_sel:DWORD dst_unused:UNUSED_PAD src0_sel:WORD_1 src1_sel:DWORD
	v_fma_f16 v8, v8, v0, -v2
	v_lshrrev_b32_e32 v0, 16, v33
	v_mul_f16_sdwa v2, v9, v0 dst_sel:DWORD dst_unused:UNUSED_PAD src0_sel:WORD_1 src1_sel:DWORD
	v_fma_f16 v31, v9, v33, v2
	v_mul_f16_sdwa v2, v9, v33 dst_sel:DWORD dst_unused:UNUSED_PAD src0_sel:WORD_1 src1_sel:DWORD
	v_fma_f16 v9, v9, v0, -v2
	;; [unrolled: 5-line block ×3, first 2 shown]
	v_lshrrev_b32_e32 v0, 16, v1
	ds_read2_b32 v[2:3], v51 offset0:106 offset1:155
	v_mul_f16_sdwa v35, v11, v0 dst_sel:DWORD dst_unused:UNUSED_PAD src0_sel:WORD_1 src1_sel:DWORD
	v_fma_f16 v35, v11, v1, v35
	v_mul_f16_sdwa v1, v11, v1 dst_sel:DWORD dst_unused:UNUSED_PAD src0_sel:WORD_1 src1_sel:DWORD
	v_fma_f16 v11, v11, v0, -v1
	ds_read2_b32 v[0:1], v13 offset0:76 offset1:125
	s_waitcnt lgkmcnt(1)
	v_lshrrev_b32_e32 v61, 16, v2
	v_mul_f16_sdwa v62, v16, v2 dst_sel:DWORD dst_unused:UNUSED_PAD src0_sel:WORD_1 src1_sel:DWORD
	v_fma_f16 v62, v16, v61, -v62
	v_mul_f16_sdwa v61, v16, v61 dst_sel:DWORD dst_unused:UNUSED_PAD src0_sel:WORD_1 src1_sel:DWORD
	v_fma_f16 v2, v16, v2, v61
	s_waitcnt lgkmcnt(0)
	v_lshrrev_b32_e32 v16, 16, v0
	v_mul_f16_sdwa v61, v17, v0 dst_sel:DWORD dst_unused:UNUSED_PAD src0_sel:WORD_1 src1_sel:DWORD
	v_fma_f16 v61, v17, v16, -v61
	v_mul_f16_sdwa v16, v17, v16 dst_sel:DWORD dst_unused:UNUSED_PAD src0_sel:WORD_1 src1_sel:DWORD
	v_fma_f16 v0, v17, v0, v16
	v_lshrrev_b32_e32 v16, 16, v3
	v_mul_f16_sdwa v17, v20, v16 dst_sel:DWORD dst_unused:UNUSED_PAD src0_sel:WORD_1 src1_sel:DWORD
	v_fma_f16 v17, v20, v3, v17
	v_mul_f16_sdwa v3, v20, v3 dst_sel:DWORD dst_unused:UNUSED_PAD src0_sel:WORD_1 src1_sel:DWORD
	v_fma_f16 v3, v20, v16, -v3
	v_lshrrev_b32_e32 v16, 16, v1
	v_mul_f16_sdwa v20, v21, v16 dst_sel:DWORD dst_unused:UNUSED_PAD src0_sel:WORD_1 src1_sel:DWORD
	v_fma_f16 v20, v21, v1, v20
	v_mul_f16_sdwa v1, v21, v1 dst_sel:DWORD dst_unused:UNUSED_PAD src0_sel:WORD_1 src1_sel:DWORD
	v_fma_f16 v16, v21, v16, -v1
	v_add_f16_e32 v21, v56, v0
	v_sub_f16_e32 v56, v56, v0
	ds_read2_b32 v[0:1], v49 offset1:49
	v_add_f16_e32 v63, v29, v61
	v_sub_f16_e32 v29, v29, v61
	v_add_f16_e32 v61, v30, v2
	v_sub_f16_e32 v2, v30, v2
	;; [unrolled: 2-line block ×5, first 2 shown]
	v_add_f16_e32 v58, v61, v21
	v_add_f16_e32 v64, v30, v63
	;; [unrolled: 1-line block ×4, first 2 shown]
	s_waitcnt lgkmcnt(0)
	v_add_f16_e32 v65, v0, v58
	v_add_f16_sdwa v0, v0, v64 dst_sel:DWORD dst_unused:UNUSED_PAD src0_sel:WORD_1 src1_sel:DWORD
	v_fma_f16 v58, v58, s16, v65
	v_fma_f16 v64, v64, s16, v0
	v_pack_b32_f16 v0, v65, v0
	v_sub_f16_e32 v65, v21, v62
	v_sub_f16_e32 v66, v63, v59
	;; [unrolled: 1-line block ×6, first 2 shown]
	v_add_f16_e32 v67, v34, v2
	v_sub_f16_e32 v34, v56, v34
	v_add_f16_e32 v69, v54, v32
	v_sub_f16_e32 v54, v29, v54
	v_mul_f16_e32 v65, 0x3a52, v65
	v_mul_f16_e32 v66, 0x3a52, v66
	;; [unrolled: 1-line block ×4, first 2 shown]
	v_add_f16_e32 v67, v67, v56
	v_add_f16_e32 v69, v69, v29
	v_fma_f16 v71, v62, s15, v65
	v_fma_f16 v72, v59, s15, v66
	v_fma_f16 v73, v34, s17, v68
	v_fma_f16 v74, v54, s17, v70
	v_add_f16_e32 v71, v71, v58
	v_add_f16_e32 v72, v72, v64
	v_fma_f16 v73, v67, s2, v73
	v_fma_f16 v74, v69, s2, v74
	v_add_f16_e32 v75, v74, v71
	v_sub_f16_e32 v76, v72, v73
	v_sub_f16_e32 v2, v2, v56
	v_pack_b32_f16 v75, v75, v76
	v_sub_f16_e32 v29, v32, v29
	v_fma_f16 v56, v2, s3, -v68
	v_mul_f16_e32 v2, 0x3b00, v2
	s_waitcnt lgkmcnt(0)
	; wave barrier
	ds_write2_b32 v55, v0, v75 offset1:7
	v_sub_f16_e32 v0, v61, v21
	v_sub_f16_e32 v21, v30, v63
	v_mul_f16_e32 v30, 0x2b26, v62
	v_mul_f16_e32 v32, 0x2b26, v59
	v_fma_f16 v2, v34, s12, v2
	v_fma_f16 v34, v29, s3, -v70
	v_mul_f16_e32 v29, 0x3b00, v29
	v_fma_f16 v30, v0, s13, -v30
	v_fma_f16 v0, v0, s18, -v65
	;; [unrolled: 1-line block ×4, first 2 shown]
	v_fma_f16 v29, v54, s12, v29
	v_add_f16_e32 v0, v0, v58
	v_add_f16_e32 v21, v21, v64
	v_fma_f16 v2, v67, s2, v2
	v_fma_f16 v29, v69, s2, v29
	v_add_f16_e32 v30, v30, v58
	v_add_f16_e32 v32, v32, v64
	v_fma_f16 v54, v67, s2, v56
	v_fma_f16 v34, v69, s2, v34
	v_add_f16_e32 v56, v29, v0
	v_sub_f16_e32 v58, v21, v2
	v_pack_b32_f16 v56, v56, v58
	v_sub_f16_e32 v58, v30, v34
	v_add_f16_e32 v59, v54, v32
	v_pack_b32_f16 v58, v58, v59
	v_add_f16_e32 v30, v34, v30
	v_sub_f16_e32 v32, v32, v54
	v_add_f16_e32 v34, v60, v20
	v_add_f16_e32 v54, v8, v16
	v_sub_f16_e32 v8, v8, v16
	v_add_f16_e32 v16, v31, v17
	v_sub_f16_e32 v17, v31, v17
	;; [unrolled: 2-line block ×3, first 2 shown]
	v_add_f16_e32 v9, v33, v35
	ds_write2_b32 v55, v56, v58 offset0:14 offset1:21
	v_sub_f16_e32 v33, v35, v33
	v_add_f16_e32 v35, v10, v11
	v_sub_f16_e32 v10, v11, v10
	v_add_f16_e32 v11, v16, v34
	v_sub_f16_e32 v56, v16, v34
	v_sub_f16_e32 v34, v34, v9
	;; [unrolled: 1-line block ×4, first 2 shown]
	v_add_f16_e32 v9, v9, v11
	v_add_f16_e32 v11, v31, v54
	v_sub_f16_e32 v58, v31, v54
	v_sub_f16_e32 v54, v54, v35
	;; [unrolled: 1-line block ×3, first 2 shown]
	v_mul_f16_e32 v34, 0x3a52, v34
	v_mul_f16_e32 v61, 0x2b26, v16
	v_add_f16_e32 v11, v35, v11
	v_add_f16_e32 v35, v33, v17
	v_sub_f16_e32 v59, v33, v17
	v_sub_f16_e32 v17, v17, v20
	v_fma_f16 v16, v16, s15, v34
	v_fma_f16 v61, v56, s13, -v61
	v_fma_f16 v34, v56, s18, -v34
	v_mul_f16_e32 v54, 0x3a52, v54
	v_mul_f16_e32 v56, 0x2b26, v31
	v_sub_f16_e32 v33, v20, v33
	v_add_f16_e32 v20, v35, v20
	v_add_f16_e32 v35, v10, v3
	v_sub_f16_e32 v60, v10, v3
	v_sub_f16_e32 v3, v3, v8
	v_fma_f16 v31, v31, s15, v54
	v_fma_f16 v56, v58, s13, -v56
	v_fma_f16 v54, v58, s18, -v54
	v_mul_f16_e32 v58, 0x3846, v59
	v_mul_f16_e32 v59, 0x3b00, v17
	v_sub_f16_e32 v10, v8, v10
	v_add_f16_e32 v8, v35, v8
	v_add_f16_e32 v35, v1, v9
	v_add_f16_sdwa v1, v1, v11 dst_sel:DWORD dst_unused:UNUSED_PAD src0_sel:WORD_1 src1_sel:DWORD
	v_fma_f16 v17, v17, s3, -v58
	v_fma_f16 v58, v33, s17, v58
	v_fma_f16 v33, v33, s12, v59
	v_mul_f16_e32 v59, 0x3846, v60
	v_mul_f16_e32 v60, 0x3b00, v3
	v_sub_f16_e32 v0, v0, v29
	v_add_f16_e32 v2, v2, v21
	v_fma_f16 v3, v3, s3, -v59
	v_fma_f16 v59, v10, s17, v59
	v_fma_f16 v10, v10, s12, v60
	;; [unrolled: 1-line block ×4, first 2 shown]
	v_sub_f16_e32 v21, v71, v74
	v_add_f16_e32 v29, v73, v72
	v_add_f16_e32 v16, v16, v9
	;; [unrolled: 1-line block ×7, first 2 shown]
	v_fma_f16 v54, v20, s2, v58
	v_fma_f16 v17, v20, s2, v17
	v_fma_f16 v20, v20, s2, v33
	v_fma_f16 v33, v8, s2, v59
	v_fma_f16 v3, v8, s2, v3
	v_fma_f16 v8, v8, s2, v10
	v_pack_b32_f16 v30, v30, v32
	v_pack_b32_f16 v0, v0, v2
	v_add_f16_e32 v56, v17, v34
	v_sub_f16_e32 v17, v34, v17
	v_add_f16_e32 v34, v8, v9
	v_sub_f16_e32 v8, v9, v8
	v_sub_f16_e32 v9, v11, v20
	v_add_f16_e32 v11, v20, v11
	v_add_f16_e32 v20, v33, v16
	v_sub_f16_e32 v16, v16, v33
	v_sub_f16_e32 v33, v31, v54
	ds_write2_b32 v55, v30, v0 offset0:28 offset1:35
	v_pack_b32_f16 v0, v21, v29
	v_sub_f16_e32 v10, v60, v3
	ds_write_b32 v55, v0 offset:168
	v_pack_b32_f16 v0, v35, v1
	v_pack_b32_f16 v1, v20, v33
	v_add_f16_e32 v3, v3, v60
	ds_write2_b32 v57, v0, v1 offset1:7
	v_pack_b32_f16 v0, v34, v9
	v_pack_b32_f16 v1, v10, v56
	v_add_f16_e32 v31, v54, v31
	ds_write2_b32 v57, v0, v1 offset0:14 offset1:21
	v_pack_b32_f16 v0, v3, v17
	v_pack_b32_f16 v1, v8, v11
	ds_write2_b32 v57, v0, v1 offset0:28 offset1:35
	v_pack_b32_f16 v0, v16, v31
	ds_write_b32 v57, v0 offset:168
	s_waitcnt lgkmcnt(0)
	; wave barrier
	s_waitcnt lgkmcnt(0)
	ds_read2_b32 v[0:1], v49 offset0:98 offset1:147
	ds_read2_b32 v[2:3], v49 offset0:196 offset1:245
	;; [unrolled: 1-line block ×5, first 2 shown]
	s_waitcnt lgkmcnt(4)
	v_lshrrev_b32_e32 v29, 16, v0
	v_mul_f16_sdwa v56, v4, v29 dst_sel:DWORD dst_unused:UNUSED_PAD src0_sel:WORD_1 src1_sel:DWORD
	v_lshrrev_b32_e32 v34, 16, v1
	v_fma_f16 v56, v4, v0, v56
	v_mul_f16_sdwa v0, v4, v0 dst_sel:DWORD dst_unused:UNUSED_PAD src0_sel:WORD_1 src1_sel:DWORD
	v_fma_f16 v0, v4, v29, -v0
	v_mul_f16_sdwa v29, v4, v34 dst_sel:DWORD dst_unused:UNUSED_PAD src0_sel:WORD_1 src1_sel:DWORD
	s_waitcnt lgkmcnt(3)
	v_lshrrev_b32_e32 v30, 16, v2
	v_lshrrev_b32_e32 v35, 16, v3
	v_fma_f16 v29, v4, v1, v29
	v_mul_f16_sdwa v1, v4, v1 dst_sel:DWORD dst_unused:UNUSED_PAD src0_sel:WORD_1 src1_sel:DWORD
	v_mul_f16_sdwa v57, v5, v2 dst_sel:DWORD dst_unused:UNUSED_PAD src0_sel:WORD_1 src1_sel:DWORD
	ds_read2_b32 v[20:21], v13 offset0:76 offset1:125
	v_fma_f16 v57, v5, v30, -v57
	v_mul_f16_sdwa v30, v5, v30 dst_sel:DWORD dst_unused:UNUSED_PAD src0_sel:WORD_1 src1_sel:DWORD
	v_fma_f16 v4, v4, v34, -v1
	v_mul_f16_sdwa v1, v5, v35 dst_sel:DWORD dst_unused:UNUSED_PAD src0_sel:WORD_1 src1_sel:DWORD
	s_waitcnt lgkmcnt(3)
	v_lshrrev_b32_e32 v31, 16, v8
	v_lshrrev_b32_e32 v54, 16, v9
	v_fma_f16 v2, v5, v2, v30
	v_fma_f16 v30, v5, v3, v1
	v_mul_f16_sdwa v1, v5, v3 dst_sel:DWORD dst_unused:UNUSED_PAD src0_sel:WORD_1 src1_sel:DWORD
	v_mul_f16_sdwa v3, v6, v8 dst_sel:DWORD dst_unused:UNUSED_PAD src0_sel:WORD_1 src1_sel:DWORD
	v_fma_f16 v3, v6, v31, -v3
	v_mul_f16_sdwa v31, v6, v31 dst_sel:DWORD dst_unused:UNUSED_PAD src0_sel:WORD_1 src1_sel:DWORD
	v_fma_f16 v5, v5, v35, -v1
	v_mul_f16_sdwa v1, v6, v54 dst_sel:DWORD dst_unused:UNUSED_PAD src0_sel:WORD_1 src1_sel:DWORD
	s_waitcnt lgkmcnt(2)
	v_lshrrev_b32_e32 v32, 16, v10
	s_waitcnt lgkmcnt(1)
	v_lshrrev_b32_e32 v33, 16, v16
	v_lshrrev_b32_e32 v55, 16, v11
	v_fma_f16 v8, v6, v8, v31
	v_fma_f16 v31, v6, v9, v1
	v_mul_f16_sdwa v1, v6, v9 dst_sel:DWORD dst_unused:UNUSED_PAD src0_sel:WORD_1 src1_sel:DWORD
	v_mul_f16_sdwa v9, v7, v10 dst_sel:DWORD dst_unused:UNUSED_PAD src0_sel:WORD_1 src1_sel:DWORD
	v_fma_f16 v9, v7, v32, -v9
	v_mul_f16_sdwa v32, v7, v32 dst_sel:DWORD dst_unused:UNUSED_PAD src0_sel:WORD_1 src1_sel:DWORD
	v_fma_f16 v6, v6, v54, -v1
	v_mul_f16_sdwa v1, v7, v55 dst_sel:DWORD dst_unused:UNUSED_PAD src0_sel:WORD_1 src1_sel:DWORD
	v_mul_f16_sdwa v35, v18, v33 dst_sel:DWORD dst_unused:UNUSED_PAD src0_sel:WORD_1 src1_sel:DWORD
	v_fma_f16 v10, v7, v10, v32
	v_fma_f16 v32, v7, v11, v1
	v_mul_f16_sdwa v1, v7, v11 dst_sel:DWORD dst_unused:UNUSED_PAD src0_sel:WORD_1 src1_sel:DWORD
	s_waitcnt lgkmcnt(0)
	v_lshrrev_b32_e32 v11, 16, v20
	v_fma_f16 v35, v18, v16, v35
	v_mul_f16_sdwa v16, v18, v16 dst_sel:DWORD dst_unused:UNUSED_PAD src0_sel:WORD_1 src1_sel:DWORD
	v_fma_f16 v16, v18, v33, -v16
	v_mul_f16_sdwa v33, v19, v11 dst_sel:DWORD dst_unused:UNUSED_PAD src0_sel:WORD_1 src1_sel:DWORD
	v_fma_f16 v7, v7, v55, -v1
	v_lshrrev_b32_e32 v1, 16, v17
	v_fma_f16 v33, v19, v20, v33
	v_mul_f16_sdwa v20, v19, v20 dst_sel:DWORD dst_unused:UNUSED_PAD src0_sel:WORD_1 src1_sel:DWORD
	v_fma_f16 v11, v19, v11, -v20
	v_mul_f16_sdwa v20, v18, v1 dst_sel:DWORD dst_unused:UNUSED_PAD src0_sel:WORD_1 src1_sel:DWORD
	v_lshrrev_b32_e32 v34, 16, v21
	v_fma_f16 v20, v18, v17, v20
	v_mul_f16_sdwa v17, v18, v17 dst_sel:DWORD dst_unused:UNUSED_PAD src0_sel:WORD_1 src1_sel:DWORD
	v_fma_f16 v17, v18, v1, -v17
	v_mul_f16_sdwa v1, v19, v34 dst_sel:DWORD dst_unused:UNUSED_PAD src0_sel:WORD_1 src1_sel:DWORD
	v_fma_f16 v18, v19, v21, v1
	v_mul_f16_sdwa v1, v19, v21 dst_sel:DWORD dst_unused:UNUSED_PAD src0_sel:WORD_1 src1_sel:DWORD
	v_fma_f16 v19, v19, v34, -v1
	v_add_f16_e32 v1, v56, v33
	v_add_f16_e32 v21, v0, v11
	v_sub_f16_e32 v0, v0, v11
	v_add_f16_e32 v11, v2, v35
	v_add_f16_e32 v34, v57, v16
	v_sub_f16_e32 v2, v2, v35
	v_sub_f16_e32 v16, v57, v16
	v_add_f16_e32 v35, v8, v10
	v_add_f16_e32 v54, v3, v9
	v_sub_f16_e32 v8, v10, v8
	v_sub_f16_e32 v3, v9, v3
	v_add_f16_e32 v9, v11, v1
	v_sub_f16_e32 v33, v56, v33
	v_add_f16_e32 v10, v34, v21
	v_sub_f16_e32 v55, v11, v1
	v_sub_f16_e32 v56, v34, v21
	;; [unrolled: 1-line block ×5, first 2 shown]
	v_add_f16_e32 v57, v8, v2
	v_add_f16_e32 v9, v35, v9
	;; [unrolled: 1-line block ×3, first 2 shown]
	v_sub_f16_e32 v34, v54, v34
	v_add_f16_e32 v10, v54, v10
	v_sub_f16_e32 v54, v8, v2
	v_sub_f16_e32 v8, v33, v8
	;; [unrolled: 1-line block ×3, first 2 shown]
	v_add_f16_e32 v33, v57, v33
	v_sub_f16_e32 v57, v3, v16
	v_sub_f16_e32 v3, v0, v3
	;; [unrolled: 1-line block ×3, first 2 shown]
	v_add_f16_e32 v35, v35, v0
	v_mul_f16_e32 v0, 0x3a52, v1
	v_mul_f16_e32 v1, 0x3a52, v21
	;; [unrolled: 1-line block ×3, first 2 shown]
	v_fma_f16 v11, v11, s15, v0
	v_fma_f16 v21, v55, s13, -v21
	v_fma_f16 v55, v55, s18, -v0
	v_mul_f16_e32 v0, 0x2b26, v34
	v_mul_f16_e32 v54, 0x3846, v54
	v_fma_f16 v58, v56, s13, -v0
	v_mul_f16_e32 v0, 0x3b00, v2
	v_fma_f16 v34, v34, s15, v1
	v_fma_f16 v56, v56, s18, -v1
	v_fma_f16 v2, v2, s3, -v54
	v_fma_f16 v54, v8, s17, v54
	v_fma_f16 v8, v8, s12, v0
	ds_read2_b32 v[0:1], v49 offset1:49
	v_mul_f16_e32 v57, 0x3846, v57
	v_mul_f16_e32 v59, 0x3b00, v16
	v_fma_f16 v16, v16, s3, -v57
	v_fma_f16 v57, v3, s17, v57
	v_fma_f16 v3, v3, s12, v59
	s_waitcnt lgkmcnt(0)
	v_add_f16_e32 v59, v0, v9
	v_add_f16_sdwa v0, v0, v10 dst_sel:DWORD dst_unused:UNUSED_PAD src0_sel:WORD_1 src1_sel:DWORD
	v_fma_f16 v9, v9, s16, v59
	v_fma_f16 v10, v10, s16, v0
	v_add_f16_e32 v11, v11, v9
	v_add_f16_e32 v21, v21, v9
	;; [unrolled: 1-line block ×6, first 2 shown]
	v_fma_f16 v54, v33, s2, v54
	v_fma_f16 v2, v33, s2, v2
	;; [unrolled: 1-line block ×6, first 2 shown]
	v_sub_f16_e32 v35, v21, v16
	v_add_f16_e32 v16, v16, v21
	v_add_f16_e32 v21, v2, v55
	v_sub_f16_e32 v2, v55, v2
	v_add_f16_e32 v55, v3, v9
	v_sub_f16_e32 v3, v9, v3
	v_sub_f16_e32 v9, v10, v8
	v_add_f16_e32 v8, v8, v10
	v_add_f16_e32 v10, v33, v11
	v_sub_f16_e32 v11, v11, v33
	v_sub_f16_e32 v33, v34, v54
	v_add_f16_e32 v34, v54, v34
	v_add_f16_e32 v54, v29, v18
	v_sub_f16_e32 v18, v29, v18
	v_add_f16_e32 v29, v4, v19
	v_sub_f16_e32 v4, v4, v19
	;; [unrolled: 2-line block ×7, first 2 shown]
	v_sub_f16_e32 v54, v54, v17
	v_sub_f16_e32 v19, v17, v19
	v_add_f16_e32 v7, v17, v7
	v_add_f16_e32 v17, v30, v29
	v_sub_f16_e32 v57, v30, v29
	v_sub_f16_e32 v29, v29, v32
	;; [unrolled: 1-line block ×3, first 2 shown]
	v_mul_f16_e32 v54, 0x3a52, v54
	v_mul_f16_e32 v61, 0x2b26, v19
	v_add_f16_e32 v17, v32, v17
	v_add_f16_e32 v32, v31, v20
	v_sub_f16_e32 v58, v31, v20
	v_sub_f16_e32 v20, v20, v18
	v_fma_f16 v19, v19, s15, v54
	v_fma_f16 v61, v56, s13, -v61
	v_fma_f16 v54, v56, s18, -v54
	v_mul_f16_e32 v29, 0x3a52, v29
	v_mul_f16_e32 v56, 0x2b26, v30
	v_sub_f16_e32 v31, v18, v31
	v_add_f16_e32 v18, v32, v18
	v_add_f16_e32 v32, v6, v5
	v_sub_f16_e32 v60, v6, v5
	v_sub_f16_e32 v5, v5, v4
	v_fma_f16 v30, v30, s15, v29
	v_fma_f16 v56, v57, s13, -v56
	v_fma_f16 v29, v57, s18, -v29
	v_mul_f16_e32 v57, 0x3846, v58
	v_mul_f16_e32 v58, 0x3b00, v20
	v_sub_f16_e32 v6, v4, v6
	v_add_f16_e32 v4, v32, v4
	v_add_f16_e32 v32, v1, v7
	v_add_f16_sdwa v1, v1, v17 dst_sel:DWORD dst_unused:UNUSED_PAD src0_sel:WORD_1 src1_sel:DWORD
	v_fma_f16 v20, v20, s3, -v57
	v_fma_f16 v57, v31, s17, v57
	v_fma_f16 v31, v31, s12, v58
	v_mul_f16_e32 v58, 0x3846, v60
	v_mul_f16_e32 v60, 0x3b00, v5
	v_pack_b32_f16 v0, v59, v0
	v_pack_b32_f16 v10, v10, v33
	v_fma_f16 v5, v5, s3, -v58
	v_fma_f16 v58, v6, s17, v58
	v_fma_f16 v6, v6, s12, v60
	v_fma_f16 v7, v7, s16, v32
	v_fma_f16 v17, v17, s16, v1
	s_waitcnt lgkmcnt(0)
	; wave barrier
	ds_write2_b32 v49, v0, v10 offset1:49
	v_pack_b32_f16 v0, v55, v9
	v_pack_b32_f16 v9, v35, v21
	v_add_f16_e32 v19, v19, v7
	v_add_f16_e32 v60, v61, v7
	;; [unrolled: 1-line block ×6, first 2 shown]
	v_fma_f16 v29, v18, s2, v57
	v_fma_f16 v20, v18, s2, v20
	;; [unrolled: 1-line block ×6, first 2 shown]
	ds_write2_b32 v49, v0, v9 offset0:98 offset1:147
	v_pack_b32_f16 v0, v16, v2
	v_pack_b32_f16 v2, v3, v8
	v_add_f16_e32 v56, v20, v54
	v_sub_f16_e32 v20, v54, v20
	v_add_f16_e32 v54, v4, v7
	v_sub_f16_e32 v4, v7, v4
	v_sub_f16_e32 v7, v17, v18
	v_add_f16_e32 v17, v18, v17
	v_add_f16_e32 v18, v31, v19
	v_sub_f16_e32 v19, v19, v31
	v_sub_f16_e32 v31, v30, v29
	ds_write2_b32 v49, v0, v2 offset0:196 offset1:245
	v_pack_b32_f16 v0, v11, v34
	v_pack_b32_f16 v1, v32, v1
	v_sub_f16_e32 v6, v60, v5
	v_add_f16_e32 v5, v5, v60
	ds_write2_b32 v53, v0, v1 offset0:38 offset1:87
	v_pack_b32_f16 v0, v18, v31
	v_pack_b32_f16 v1, v54, v7
	v_add_f16_e32 v29, v29, v30
	ds_write2_b32 v53, v0, v1 offset0:136 offset1:185
	v_pack_b32_f16 v0, v6, v56
	v_pack_b32_f16 v1, v5, v20
	ds_write2_b32 v51, v0, v1 offset0:106 offset1:155
	v_pack_b32_f16 v0, v4, v17
	v_pack_b32_f16 v1, v19, v29
	ds_write2_b32 v13, v0, v1 offset0:76 offset1:125
	s_waitcnt lgkmcnt(0)
	; wave barrier
	s_waitcnt lgkmcnt(0)
	ds_read2_b32 v[0:1], v49 offset1:49
	ds_read2_b32 v[2:3], v53 offset0:38 offset1:87
	ds_read2_b32 v[6:7], v53 offset0:136 offset1:185
	;; [unrolled: 1-line block ×6, first 2 shown]
	s_waitcnt lgkmcnt(6)
	v_lshrrev_b32_e32 v5, 16, v0
	s_waitcnt lgkmcnt(4)
	v_lshrrev_b32_e32 v29, 16, v6
	v_mul_f16_sdwa v56, v26, v6 dst_sel:DWORD dst_unused:UNUSED_PAD src0_sel:WORD_1 src1_sel:DWORD
	v_lshrrev_b32_e32 v31, 16, v7
	v_fma_f16 v56, v26, v29, -v56
	v_mul_f16_sdwa v29, v26, v29 dst_sel:DWORD dst_unused:UNUSED_PAD src0_sel:WORD_1 src1_sel:DWORD
	v_fma_f16 v6, v26, v6, v29
	v_mul_f16_sdwa v26, v27, v31 dst_sel:DWORD dst_unused:UNUSED_PAD src0_sel:WORD_1 src1_sel:DWORD
	v_fma_f16 v26, v27, v7, v26
	v_mul_f16_sdwa v7, v27, v7 dst_sel:DWORD dst_unused:UNUSED_PAD src0_sel:WORD_1 src1_sel:DWORD
	v_lshrrev_b32_e32 v20, 16, v3
	v_fma_f16 v7, v27, v31, -v7
	v_mul_f16_sdwa v31, v22, v3 dst_sel:DWORD dst_unused:UNUSED_PAD src0_sel:WORD_1 src1_sel:DWORD
	s_waitcnt lgkmcnt(2)
	v_lshrrev_b32_e32 v33, 16, v10
	v_fma_f16 v31, v22, v20, -v31
	v_mul_f16_sdwa v20, v22, v20 dst_sel:DWORD dst_unused:UNUSED_PAD src0_sel:WORD_1 src1_sel:DWORD
	v_lshrrev_b32_e32 v35, 16, v11
	v_fma_f16 v3, v22, v3, v20
	v_mul_f16_sdwa v22, v23, v33 dst_sel:DWORD dst_unused:UNUSED_PAD src0_sel:WORD_1 src1_sel:DWORD
	v_mul_f16_sdwa v20, v23, v10 dst_sel:DWORD dst_unused:UNUSED_PAD src0_sel:WORD_1 src1_sel:DWORD
	v_fma_f16 v10, v23, v10, v22
	v_mul_f16_sdwa v22, v24, v35 dst_sel:DWORD dst_unused:UNUSED_PAD src0_sel:WORD_1 src1_sel:DWORD
	s_waitcnt lgkmcnt(0)
	v_lshrrev_b32_e32 v55, 16, v18
	v_lshrrev_b32_e32 v27, 16, v19
	v_fma_f16 v22, v24, v11, v22
	v_mul_f16_sdwa v11, v24, v11 dst_sel:DWORD dst_unused:UNUSED_PAD src0_sel:WORD_1 src1_sel:DWORD
	v_fma_f16 v20, v23, v33, -v20
	v_fma_f16 v11, v24, v35, -v11
	v_mul_f16_sdwa v23, v25, v55 dst_sel:DWORD dst_unused:UNUSED_PAD src0_sel:WORD_1 src1_sel:DWORD
	v_mul_f16_sdwa v24, v28, v27 dst_sel:DWORD dst_unused:UNUSED_PAD src0_sel:WORD_1 src1_sel:DWORD
	v_lshrrev_b32_e32 v21, 16, v1
	v_fma_f16 v23, v25, v18, v23
	v_mul_f16_sdwa v18, v25, v18 dst_sel:DWORD dst_unused:UNUSED_PAD src0_sel:WORD_1 src1_sel:DWORD
	v_fma_f16 v24, v28, v19, v24
	v_mul_f16_sdwa v19, v28, v19 dst_sel:DWORD dst_unused:UNUSED_PAD src0_sel:WORD_1 src1_sel:DWORD
	v_fma_f16 v18, v25, v55, -v18
	v_fma_f16 v19, v28, v27, -v19
	v_sub_f16_e32 v3, v0, v3
	v_sub_f16_e32 v25, v5, v31
	;; [unrolled: 1-line block ×4, first 2 shown]
	v_lshrrev_b32_e32 v30, 16, v8
	v_lshrrev_b32_e32 v32, 16, v9
	v_fma_f16 v0, v0, 2.0, -v3
	v_fma_f16 v5, v5, 2.0, -v25
	;; [unrolled: 1-line block ×4, first 2 shown]
	v_sub_f16_e32 v26, v8, v26
	v_sub_f16_e32 v7, v30, v7
	;; [unrolled: 1-line block ×4, first 2 shown]
	v_pack_b32_f16 v0, v0, v5
	v_pack_b32_f16 v3, v3, v25
	;; [unrolled: 1-line block ×3, first 2 shown]
	v_lshrrev_b32_e32 v34, 16, v16
	v_lshrrev_b32_e32 v54, 16, v17
	v_fma_f16 v8, v8, 2.0, -v26
	v_fma_f16 v28, v30, 2.0, -v7
	;; [unrolled: 1-line block ×4, first 2 shown]
	ds_write_b32 v49, v3 offset:1372
	ds_write2_b32 v49, v0, v1 offset1:49
	v_pack_b32_f16 v0, v6, v27
	v_pack_b32_f16 v3, v26, v7
	v_lshrrev_b32_e32 v29, 16, v2
	v_sub_f16_e32 v22, v16, v22
	v_sub_f16_e32 v11, v34, v11
	;; [unrolled: 1-line block ×4, first 2 shown]
	v_pack_b32_f16 v1, v8, v28
	ds_write2_b32 v53, v0, v3 offset0:136 offset1:185
	v_pack_b32_f16 v0, v9, v30
	v_fma_f16 v16, v16, 2.0, -v22
	v_fma_f16 v31, v34, 2.0, -v11
	;; [unrolled: 1-line block ×4, first 2 shown]
	v_sub_f16_e32 v24, v2, v24
	v_sub_f16_e32 v19, v29, v19
	ds_write2_b32 v49, v1, v0 offset0:98 offset1:147
	v_pack_b32_f16 v0, v10, v20
	v_pack_b32_f16 v3, v22, v11
	v_fma_f16 v2, v2, 2.0, -v24
	v_fma_f16 v29, v29, 2.0, -v19
	v_pack_b32_f16 v1, v16, v31
	ds_write2_b32 v51, v0, v3 offset0:106 offset1:155
	v_pack_b32_f16 v0, v17, v32
	ds_write2_b32 v49, v1, v0 offset0:196 offset1:245
	v_pack_b32_f16 v1, v2, v29
	v_pack_b32_f16 v0, v23, v18
	ds_write_b32 v49, v1 offset:1176
	v_pack_b32_f16 v1, v24, v19
	ds_write2_b32 v13, v0, v1 offset0:76 offset1:125
	s_waitcnt lgkmcnt(0)
	; wave barrier
	s_waitcnt lgkmcnt(0)
	ds_read2_b32 v[0:1], v49 offset1:49
	v_mov_b32_e32 v4, s0
	v_mov_b32_e32 v5, s1
	v_mad_u64_u32 v[6:7], s[0:1], s6, v14, 0
	s_waitcnt lgkmcnt(0)
	v_lshrrev_b32_e32 v8, 16, v0
	v_mul_f16_sdwa v3, v52, v8 dst_sel:DWORD dst_unused:UNUSED_PAD src0_sel:WORD_1 src1_sel:DWORD
	v_fma_f16 v3, v52, v0, v3
	v_cvt_f32_f16_e32 v9, v3
	v_mov_b32_e32 v2, v7
	v_mad_u64_u32 v[2:3], s[0:1], s7, v14, v[2:3]
	s_mov_b32 s2, 0x515a4f1d
	v_mov_b32_e32 v7, v2
	v_cvt_f64_f32_e32 v[2:3], v9
	s_mov_b32 s3, 0x3f57e225
	v_mul_f64 v[2:3], v[2:3], s[2:3]
	s_movk_i32 s6, 0x1ff
	v_and_or_b32 v2, v3, s6, v2
	v_cmp_ne_u32_e32 vcc, 0, v2
	v_lshrrev_b32_e32 v9, 8, v3
	s_movk_i32 s7, 0xffe
	v_cndmask_b32_e64 v2, 0, 1, vcc
	v_bfe_u32 v10, v3, 20, 11
	v_and_or_b32 v2, v9, s7, v2
	v_sub_u32_e32 v11, 0x3f1, v10
	v_or_b32_e32 v9, 0x1000, v2
	v_med3_i32 v11, v11, 0, 13
	v_lshrrev_b32_e32 v14, v11, v9
	v_lshlrev_b32_e32 v11, v11, v14
	v_cmp_ne_u32_e32 vcc, v11, v9
	v_add_u32_e32 v10, 0xfffffc10, v10
	v_lshl_or_b32 v11, v10, 12, v2
	v_cndmask_b32_e64 v9, 0, 1, vcc
	v_or_b32_e32 v9, v14, v9
	v_cmp_gt_i32_e32 vcc, 1, v10
	v_mul_f16_sdwa v0, v52, v0 dst_sel:DWORD dst_unused:UNUSED_PAD src0_sel:WORD_1 src1_sel:DWORD
	v_fma_f16 v0, v52, v8, -v0
	v_cndmask_b32_e32 v9, v11, v9, vcc
	v_and_b32_e32 v11, 7, v9
	v_cmp_lt_i32_e32 vcc, 5, v11
	v_cmp_eq_u32_e64 s[0:1], 3, v11
	v_lshrrev_b32_e32 v9, 2, v9
	s_or_b64 vcc, s[0:1], vcc
	v_addc_co_u32_e32 v9, vcc, 0, v9, vcc
	v_mov_b32_e32 v14, 0x7c00
	v_cmp_gt_i32_e32 vcc, 31, v10
	v_cvt_f32_f16_e32 v0, v0
	v_and_b32_sdwa v17, v3, s9 dst_sel:DWORD dst_unused:UNUSED_PAD src0_sel:WORD_1 src1_sel:DWORD
	v_cndmask_b32_e32 v9, v14, v9, vcc
	v_cmp_ne_u32_e32 vcc, 0, v2
	v_lshl_add_u64 v[4:5], v[6:7], 2, v[4:5]
	s_nop 0
	v_cndmask_b32_e64 v2, 0, 1, vcc
	v_lshl_or_b32 v2, v2, 9, v14
	v_cmp_eq_u32_e32 vcc, s8, v10
	s_nop 1
	v_cndmask_b32_e32 v16, v9, v2, vcc
	v_cvt_f64_f32_e32 v[2:3], v0
	v_mul_f64 v[2:3], v[2:3], s[2:3]
	v_and_or_b32 v0, v3, s6, v2
	v_cmp_ne_u32_e32 vcc, 0, v0
	v_lshrrev_b32_e32 v2, 8, v3
	v_bfe_u32 v8, v3, 20, 11
	v_cndmask_b32_e64 v0, 0, 1, vcc
	v_and_or_b32 v0, v2, s7, v0
	v_sub_u32_e32 v9, 0x3f1, v8
	v_or_b32_e32 v2, 0x1000, v0
	v_med3_i32 v9, v9, 0, 13
	v_lshrrev_b32_e32 v10, v9, v2
	v_lshlrev_b32_e32 v9, v9, v10
	v_cmp_ne_u32_e32 vcc, v9, v2
	v_add_u32_e32 v8, 0xfffffc10, v8
	v_lshl_or_b32 v9, v8, 12, v0
	v_cndmask_b32_e64 v2, 0, 1, vcc
	v_or_b32_e32 v2, v10, v2
	v_cmp_gt_i32_e32 vcc, 1, v8
	s_nop 1
	v_cndmask_b32_e32 v2, v9, v2, vcc
	v_and_b32_e32 v9, 7, v2
	v_cmp_lt_i32_e32 vcc, 5, v9
	v_cmp_eq_u32_e64 s[0:1], 3, v9
	v_lshrrev_b32_e32 v2, 2, v2
	s_or_b64 vcc, s[0:1], vcc
	v_addc_co_u32_e32 v2, vcc, 0, v2, vcc
	v_cmp_gt_i32_e32 vcc, 31, v8
	s_nop 1
	v_cndmask_b32_e32 v2, v14, v2, vcc
	v_cmp_ne_u32_e32 vcc, 0, v0
	s_nop 1
	v_cndmask_b32_e64 v0, 0, 1, vcc
	v_lshl_or_b32 v0, v0, 9, v14
	v_cmp_eq_u32_e32 vcc, s8, v8
	v_mad_u64_u32 v[8:9], s[0:1], s4, v12, 0
	s_nop 0
	v_cndmask_b32_e32 v0, v2, v0, vcc
	v_lshrrev_b32_e32 v2, 16, v3
	v_and_or_b32 v18, v2, s9, v0
	ds_read2_b32 v[2:3], v49 offset0:98 offset1:147
	v_mov_b32_e32 v0, v9
	v_mad_u64_u32 v[10:11], s[0:1], s5, v12, v[0:1]
	v_mov_b32_e32 v9, v10
	s_waitcnt lgkmcnt(0)
	v_lshrrev_b32_e32 v10, 16, v2
	v_mul_f16_sdwa v11, v50, v10 dst_sel:DWORD dst_unused:UNUSED_PAD src0_sel:WORD_1 src1_sel:DWORD
	v_fma_f16 v11, v50, v2, v11
	v_cvt_f32_f16_e32 v11, v11
	v_bitop3_b32 v0, v17, s14, v16 bitop3:0xc8
	v_lshl_add_u64 v[6:7], v[8:9], 2, v[4:5]
	v_lshl_or_b32 v0, v18, 16, v0
	v_cvt_f64_f32_e32 v[4:5], v11
	v_mul_f64 v[4:5], v[4:5], s[2:3]
	global_store_dword v[6:7], v0, off
	v_and_or_b32 v0, v5, s6, v4
	v_cmp_ne_u32_e32 vcc, 0, v0
	v_lshrrev_b32_e32 v4, 8, v5
	v_bfe_u32 v8, v5, 20, 11
	v_cndmask_b32_e64 v0, 0, 1, vcc
	v_and_or_b32 v0, v4, s7, v0
	v_sub_u32_e32 v9, 0x3f1, v8
	v_or_b32_e32 v4, 0x1000, v0
	v_med3_i32 v9, v9, 0, 13
	v_lshrrev_b32_e32 v11, v9, v4
	v_lshlrev_b32_e32 v9, v9, v11
	v_cmp_ne_u32_e32 vcc, v9, v4
	v_add_u32_e32 v8, 0xfffffc10, v8
	v_lshl_or_b32 v9, v8, 12, v0
	v_cndmask_b32_e64 v4, 0, 1, vcc
	v_or_b32_e32 v4, v11, v4
	v_cmp_gt_i32_e32 vcc, 1, v8
	v_mul_f16_sdwa v2, v50, v2 dst_sel:DWORD dst_unused:UNUSED_PAD src0_sel:WORD_1 src1_sel:DWORD
	v_fma_f16 v2, v50, v10, -v2
	v_cndmask_b32_e32 v4, v9, v4, vcc
	v_and_b32_e32 v9, 7, v4
	v_cmp_lt_i32_e32 vcc, 5, v9
	v_cmp_eq_u32_e64 s[0:1], 3, v9
	v_lshrrev_b32_e32 v4, 2, v4
	s_or_b64 vcc, s[0:1], vcc
	v_addc_co_u32_e32 v4, vcc, 0, v4, vcc
	v_cmp_gt_i32_e32 vcc, 31, v8
	v_cvt_f32_f16_e32 v2, v2
	s_nop 0
	v_cndmask_b32_e32 v4, v14, v4, vcc
	v_cmp_ne_u32_e32 vcc, 0, v0
	s_nop 1
	v_cndmask_b32_e64 v0, 0, 1, vcc
	v_lshl_or_b32 v0, v0, 9, v14
	v_cmp_eq_u32_e32 vcc, s8, v8
	v_and_b32_sdwa v8, v5, s9 dst_sel:DWORD dst_unused:UNUSED_PAD src0_sel:WORD_1 src1_sel:DWORD
	s_nop 0
	v_cndmask_b32_e32 v0, v4, v0, vcc
	v_cvt_f64_f32_e32 v[4:5], v2
	v_mul_f64 v[4:5], v[4:5], s[2:3]
	v_and_or_b32 v2, v5, s6, v4
	v_cmp_ne_u32_e32 vcc, 0, v2
	v_lshrrev_b32_e32 v4, 8, v5
	v_bfe_u32 v9, v5, 20, 11
	v_cndmask_b32_e64 v2, 0, 1, vcc
	v_and_or_b32 v2, v4, s7, v2
	v_sub_u32_e32 v10, 0x3f1, v9
	v_or_b32_e32 v4, 0x1000, v2
	v_med3_i32 v10, v10, 0, 13
	v_lshrrev_b32_e32 v11, v10, v4
	v_lshlrev_b32_e32 v10, v10, v11
	v_cmp_ne_u32_e32 vcc, v10, v4
	v_add_u32_e32 v9, 0xfffffc10, v9
	v_lshl_or_b32 v10, v9, 12, v2
	v_cndmask_b32_e64 v4, 0, 1, vcc
	v_or_b32_e32 v4, v11, v4
	v_cmp_gt_i32_e32 vcc, 1, v9
	v_bitop3_b32 v0, v8, s14, v0 bitop3:0xc8
	s_nop 0
	v_cndmask_b32_e32 v4, v10, v4, vcc
	v_and_b32_e32 v10, 7, v4
	v_cmp_lt_i32_e32 vcc, 5, v10
	v_cmp_eq_u32_e64 s[0:1], 3, v10
	v_lshrrev_b32_e32 v4, 2, v4
	s_or_b64 vcc, s[0:1], vcc
	v_addc_co_u32_e32 v4, vcc, 0, v4, vcc
	v_cmp_gt_i32_e32 vcc, 31, v9
	s_nop 1
	v_cndmask_b32_e32 v4, v14, v4, vcc
	v_cmp_ne_u32_e32 vcc, 0, v2
	s_nop 1
	v_cndmask_b32_e64 v2, 0, 1, vcc
	v_lshl_or_b32 v2, v2, 9, v14
	v_cmp_eq_u32_e32 vcc, s8, v9
	v_mad_u64_u32 v[8:9], s[0:1], s4, v15, v[6:7]
	s_nop 0
	v_cndmask_b32_e32 v2, v4, v2, vcc
	v_lshrrev_b32_e32 v4, 16, v5
	v_and_or_b32 v2, v4, s9, v2
	ds_read2_b32 v[4:5], v49 offset0:196 offset1:245
	v_lshl_or_b32 v0, v2, 16, v0
	v_add_u32_e32 v9, s10, v9
	global_store_dword v[8:9], v0, off
	s_waitcnt lgkmcnt(0)
	v_lshrrev_b32_e32 v2, 16, v4
	v_mul_f16_sdwa v6, v48, v2 dst_sel:DWORD dst_unused:UNUSED_PAD src0_sel:WORD_1 src1_sel:DWORD
	v_fma_f16 v6, v48, v4, v6
	v_cvt_f32_f16_e32 v6, v6
	v_mul_f16_sdwa v4, v48, v4 dst_sel:DWORD dst_unused:UNUSED_PAD src0_sel:WORD_1 src1_sel:DWORD
	v_fma_f16 v2, v48, v2, -v4
	v_cvt_f32_f16_e32 v2, v2
	v_cvt_f64_f32_e32 v[6:7], v6
	v_mul_f64 v[6:7], v[6:7], s[2:3]
	v_and_or_b32 v0, v7, s6, v6
	v_cmp_ne_u32_e32 vcc, 0, v0
	v_lshrrev_b32_e32 v6, 8, v7
	v_bfe_u32 v10, v7, 20, 11
	v_cndmask_b32_e64 v0, 0, 1, vcc
	v_and_or_b32 v0, v6, s7, v0
	v_sub_u32_e32 v11, 0x3f1, v10
	v_or_b32_e32 v6, 0x1000, v0
	v_med3_i32 v11, v11, 0, 13
	v_lshrrev_b32_e32 v12, v11, v6
	v_lshlrev_b32_e32 v11, v11, v12
	v_cmp_ne_u32_e32 vcc, v11, v6
	v_add_u32_e32 v10, 0xfffffc10, v10
	v_lshl_or_b32 v11, v10, 12, v0
	v_cndmask_b32_e64 v6, 0, 1, vcc
	v_or_b32_e32 v6, v12, v6
	v_cmp_gt_i32_e32 vcc, 1, v10
	v_and_b32_sdwa v4, v7, s9 dst_sel:DWORD dst_unused:UNUSED_PAD src0_sel:WORD_1 src1_sel:DWORD
	s_nop 0
	v_cndmask_b32_e32 v6, v11, v6, vcc
	v_and_b32_e32 v11, 7, v6
	v_cmp_lt_i32_e32 vcc, 5, v11
	v_cmp_eq_u32_e64 s[0:1], 3, v11
	v_lshrrev_b32_e32 v6, 2, v6
	s_or_b64 vcc, s[0:1], vcc
	v_addc_co_u32_e32 v6, vcc, 0, v6, vcc
	v_cmp_gt_i32_e32 vcc, 31, v10
	s_nop 1
	v_cndmask_b32_e32 v6, v14, v6, vcc
	v_cmp_ne_u32_e32 vcc, 0, v0
	s_nop 1
	v_cndmask_b32_e64 v0, 0, 1, vcc
	v_lshl_or_b32 v0, v0, 9, v14
	v_cmp_eq_u32_e32 vcc, s8, v10
	s_nop 1
	v_cndmask_b32_e32 v0, v6, v0, vcc
	v_cvt_f64_f32_e32 v[6:7], v2
	v_mul_f64 v[10:11], v[6:7], s[2:3]
	v_and_or_b32 v2, v11, s6, v10
	v_cmp_ne_u32_e32 vcc, 0, v2
	v_lshrrev_b32_e32 v6, 8, v11
	v_bfe_u32 v7, v11, 20, 11
	v_cndmask_b32_e64 v2, 0, 1, vcc
	v_and_or_b32 v2, v6, s7, v2
	v_sub_u32_e32 v10, 0x3f1, v7
	v_or_b32_e32 v6, 0x1000, v2
	v_med3_i32 v10, v10, 0, 13
	v_lshrrev_b32_e32 v12, v10, v6
	v_lshlrev_b32_e32 v10, v10, v12
	v_cmp_ne_u32_e32 vcc, v10, v6
	v_add_u32_e32 v7, 0xfffffc10, v7
	v_lshl_or_b32 v10, v7, 12, v2
	v_cndmask_b32_e64 v6, 0, 1, vcc
	v_or_b32_e32 v6, v12, v6
	v_cmp_gt_i32_e32 vcc, 1, v7
	v_bitop3_b32 v0, v4, s14, v0 bitop3:0xc8
	s_nop 0
	v_cndmask_b32_e32 v6, v10, v6, vcc
	v_and_b32_e32 v10, 7, v6
	v_cmp_lt_i32_e32 vcc, 5, v10
	v_cmp_eq_u32_e64 s[0:1], 3, v10
	v_lshrrev_b32_e32 v6, 2, v6
	s_or_b64 vcc, s[0:1], vcc
	v_addc_co_u32_e32 v6, vcc, 0, v6, vcc
	v_cmp_gt_i32_e32 vcc, 31, v7
	v_lshrrev_b32_e32 v10, 16, v11
	s_nop 0
	v_cndmask_b32_e32 v6, v14, v6, vcc
	v_cmp_ne_u32_e32 vcc, 0, v2
	s_nop 1
	v_cndmask_b32_e64 v2, 0, 1, vcc
	v_lshl_or_b32 v2, v2, 9, v14
	v_cmp_eq_u32_e32 vcc, s8, v7
	s_nop 1
	v_cndmask_b32_e32 v2, v6, v2, vcc
	ds_read2_b32 v[6:7], v53 offset0:38 offset1:87
	v_and_or_b32 v2, v10, s9, v2
	v_lshl_or_b32 v0, v2, 16, v0
	v_mad_u64_u32 v[10:11], s[0:1], s4, v15, v[8:9]
	s_waitcnt lgkmcnt(0)
	v_lshrrev_b32_e32 v2, 16, v6
	v_mul_f16_sdwa v4, v47, v2 dst_sel:DWORD dst_unused:UNUSED_PAD src0_sel:WORD_1 src1_sel:DWORD
	v_fma_f16 v4, v47, v6, v4
	v_cvt_f32_f16_e32 v4, v4
	v_add_u32_e32 v11, s10, v11
	global_store_dword v[10:11], v0, off
	v_mul_f16_sdwa v6, v47, v6 dst_sel:DWORD dst_unused:UNUSED_PAD src0_sel:WORD_1 src1_sel:DWORD
	v_cvt_f64_f32_e32 v[8:9], v4
	v_mul_f64 v[8:9], v[8:9], s[2:3]
	v_and_or_b32 v0, v9, s6, v8
	v_cmp_ne_u32_e32 vcc, 0, v0
	v_lshrrev_b32_e32 v4, 8, v9
	v_bfe_u32 v8, v9, 20, 11
	v_cndmask_b32_e64 v0, 0, 1, vcc
	v_and_or_b32 v0, v4, s7, v0
	v_sub_u32_e32 v12, 0x3f1, v8
	v_or_b32_e32 v4, 0x1000, v0
	v_med3_i32 v12, v12, 0, 13
	v_lshrrev_b32_e32 v16, v12, v4
	v_lshlrev_b32_e32 v12, v12, v16
	v_cmp_ne_u32_e32 vcc, v12, v4
	v_add_u32_e32 v8, 0xfffffc10, v8
	v_lshl_or_b32 v12, v8, 12, v0
	v_cndmask_b32_e64 v4, 0, 1, vcc
	v_or_b32_e32 v4, v16, v4
	v_cmp_gt_i32_e32 vcc, 1, v8
	v_fma_f16 v2, v47, v2, -v6
	v_cvt_f32_f16_e32 v2, v2
	v_cndmask_b32_e32 v4, v12, v4, vcc
	v_and_b32_e32 v12, 7, v4
	v_cmp_lt_i32_e32 vcc, 5, v12
	v_cmp_eq_u32_e64 s[0:1], 3, v12
	v_lshrrev_b32_e32 v4, 2, v4
	s_or_b64 vcc, s[0:1], vcc
	v_addc_co_u32_e32 v4, vcc, 0, v4, vcc
	v_cmp_gt_i32_e32 vcc, 31, v8
	s_nop 1
	v_cndmask_b32_e32 v4, v14, v4, vcc
	v_cmp_ne_u32_e32 vcc, 0, v0
	s_nop 1
	v_cndmask_b32_e64 v0, 0, 1, vcc
	v_lshl_or_b32 v0, v0, 9, v14
	v_cmp_eq_u32_e32 vcc, s8, v8
	s_nop 1
	v_cndmask_b32_e32 v0, v4, v0, vcc
	v_and_b32_sdwa v4, v9, s9 dst_sel:DWORD dst_unused:UNUSED_PAD src0_sel:WORD_1 src1_sel:DWORD
	v_cvt_f64_f32_e32 v[8:9], v2
	v_mul_f64 v[16:17], v[8:9], s[2:3]
	v_and_or_b32 v2, v17, s6, v16
	v_cmp_ne_u32_e32 vcc, 0, v2
	v_lshrrev_b32_e32 v6, 8, v17
	v_bfe_u32 v8, v17, 20, 11
	v_cndmask_b32_e64 v2, 0, 1, vcc
	v_and_or_b32 v2, v6, s7, v2
	v_sub_u32_e32 v9, 0x3f1, v8
	v_or_b32_e32 v6, 0x1000, v2
	v_med3_i32 v9, v9, 0, 13
	v_lshrrev_b32_e32 v12, v9, v6
	v_lshlrev_b32_e32 v9, v9, v12
	v_cmp_ne_u32_e32 vcc, v9, v6
	v_add_u32_e32 v8, 0xfffffc10, v8
	v_lshl_or_b32 v9, v8, 12, v2
	v_cndmask_b32_e64 v6, 0, 1, vcc
	v_or_b32_e32 v6, v12, v6
	v_cmp_gt_i32_e32 vcc, 1, v8
	v_bitop3_b32 v0, v4, s14, v0 bitop3:0xc8
	s_nop 0
	v_cndmask_b32_e32 v6, v9, v6, vcc
	v_and_b32_e32 v9, 7, v6
	v_cmp_lt_i32_e32 vcc, 5, v9
	v_cmp_eq_u32_e64 s[0:1], 3, v9
	v_lshrrev_b32_e32 v6, 2, v6
	s_or_b64 vcc, s[0:1], vcc
	v_addc_co_u32_e32 v6, vcc, 0, v6, vcc
	v_cmp_gt_i32_e32 vcc, 31, v8
	s_nop 1
	v_cndmask_b32_e32 v6, v14, v6, vcc
	v_cmp_ne_u32_e32 vcc, 0, v2
	s_nop 1
	v_cndmask_b32_e64 v2, 0, 1, vcc
	v_cmp_eq_u32_e32 vcc, s8, v8
	ds_read2_b32 v[8:9], v53 offset0:136 offset1:185
	v_lshl_or_b32 v2, v2, 9, v14
	v_cndmask_b32_e32 v2, v6, v2, vcc
	v_lshrrev_b32_e32 v6, 16, v17
	v_and_or_b32 v2, v6, s9, v2
	v_lshl_or_b32 v0, v2, 16, v0
	s_waitcnt lgkmcnt(0)
	v_lshrrev_b32_e32 v2, 16, v8
	v_mul_f16_sdwa v4, v46, v2 dst_sel:DWORD dst_unused:UNUSED_PAD src0_sel:WORD_1 src1_sel:DWORD
	v_fma_f16 v4, v46, v8, v4
	v_cvt_f32_f16_e32 v4, v4
	v_mad_u64_u32 v[16:17], s[0:1], s4, v15, v[10:11]
	v_add_u32_e32 v17, s10, v17
	v_cvt_f64_f32_e32 v[10:11], v4
	v_mul_f64 v[10:11], v[10:11], s[2:3]
	global_store_dword v[16:17], v0, off
	v_and_or_b32 v0, v11, s6, v10
	v_cmp_ne_u32_e32 vcc, 0, v0
	v_lshrrev_b32_e32 v4, 8, v11
	v_bfe_u32 v6, v11, 20, 11
	v_cndmask_b32_e64 v0, 0, 1, vcc
	v_and_or_b32 v0, v4, s7, v0
	v_sub_u32_e32 v10, 0x3f1, v6
	v_or_b32_e32 v4, 0x1000, v0
	v_med3_i32 v10, v10, 0, 13
	v_lshrrev_b32_e32 v12, v10, v4
	v_lshlrev_b32_e32 v10, v10, v12
	v_cmp_ne_u32_e32 vcc, v10, v4
	v_add_u32_e32 v6, 0xfffffc10, v6
	v_lshl_or_b32 v10, v6, 12, v0
	v_cndmask_b32_e64 v4, 0, 1, vcc
	v_or_b32_e32 v4, v12, v4
	v_cmp_gt_i32_e32 vcc, 1, v6
	v_mul_f16_sdwa v8, v46, v8 dst_sel:DWORD dst_unused:UNUSED_PAD src0_sel:WORD_1 src1_sel:DWORD
	v_fma_f16 v2, v46, v2, -v8
	v_cndmask_b32_e32 v4, v10, v4, vcc
	v_and_b32_e32 v10, 7, v4
	v_cmp_lt_i32_e32 vcc, 5, v10
	v_cmp_eq_u32_e64 s[0:1], 3, v10
	v_lshrrev_b32_e32 v4, 2, v4
	s_or_b64 vcc, s[0:1], vcc
	v_addc_co_u32_e32 v4, vcc, 0, v4, vcc
	v_cmp_gt_i32_e32 vcc, 31, v6
	v_cvt_f32_f16_e32 v2, v2
	s_nop 0
	v_cndmask_b32_e32 v4, v14, v4, vcc
	v_cmp_ne_u32_e32 vcc, 0, v0
	s_nop 1
	v_cndmask_b32_e64 v0, 0, 1, vcc
	v_lshl_or_b32 v0, v0, 9, v14
	v_cmp_eq_u32_e32 vcc, s8, v6
	s_nop 1
	v_cndmask_b32_e32 v0, v4, v0, vcc
	v_and_b32_sdwa v4, v11, s9 dst_sel:DWORD dst_unused:UNUSED_PAD src0_sel:WORD_1 src1_sel:DWORD
	v_cvt_f64_f32_e32 v[10:11], v2
	v_mul_f64 v[18:19], v[10:11], s[2:3]
	v_and_or_b32 v2, v19, s6, v18
	v_cmp_ne_u32_e32 vcc, 0, v2
	v_lshrrev_b32_e32 v6, 8, v19
	v_bfe_u32 v8, v19, 20, 11
	v_cndmask_b32_e64 v2, 0, 1, vcc
	v_and_or_b32 v2, v6, s7, v2
	v_sub_u32_e32 v10, 0x3f1, v8
	v_or_b32_e32 v6, 0x1000, v2
	v_med3_i32 v10, v10, 0, 13
	v_lshrrev_b32_e32 v11, v10, v6
	v_lshlrev_b32_e32 v10, v10, v11
	v_cmp_ne_u32_e32 vcc, v10, v6
	v_add_u32_e32 v8, 0xfffffc10, v8
	v_lshl_or_b32 v10, v8, 12, v2
	v_cndmask_b32_e64 v6, 0, 1, vcc
	v_or_b32_e32 v6, v11, v6
	v_cmp_gt_i32_e32 vcc, 1, v8
	v_bitop3_b32 v0, v4, s14, v0 bitop3:0xc8
	s_nop 0
	v_cndmask_b32_e32 v6, v10, v6, vcc
	v_and_b32_e32 v10, 7, v6
	v_cmp_lt_i32_e32 vcc, 5, v10
	v_cmp_eq_u32_e64 s[0:1], 3, v10
	v_lshrrev_b32_e32 v6, 2, v6
	s_or_b64 vcc, s[0:1], vcc
	v_addc_co_u32_e32 v6, vcc, 0, v6, vcc
	v_cmp_gt_i32_e32 vcc, 31, v8
	ds_read2_b32 v[10:11], v51 offset0:106 offset1:155
	v_mad_u64_u32 v[16:17], s[0:1], s4, v15, v[16:17]
	v_cndmask_b32_e32 v6, v14, v6, vcc
	v_cmp_ne_u32_e32 vcc, 0, v2
	v_add_u32_e32 v17, s10, v17
	s_nop 0
	v_cndmask_b32_e64 v2, 0, 1, vcc
	v_lshl_or_b32 v2, v2, 9, v14
	v_cmp_eq_u32_e32 vcc, s8, v8
	s_nop 1
	v_cndmask_b32_e32 v2, v6, v2, vcc
	v_lshrrev_b32_e32 v6, 16, v19
	v_and_or_b32 v2, v6, s9, v2
	v_lshl_or_b32 v0, v2, 16, v0
	s_waitcnt lgkmcnt(0)
	v_lshrrev_b32_e32 v2, 16, v10
	v_mul_f16_sdwa v4, v45, v2 dst_sel:DWORD dst_unused:UNUSED_PAD src0_sel:WORD_1 src1_sel:DWORD
	v_fma_f16 v4, v45, v10, v4
	v_cvt_f32_f16_e32 v4, v4
	global_store_dword v[16:17], v0, off
	v_cvt_f64_f32_e32 v[18:19], v4
	v_mul_f64 v[18:19], v[18:19], s[2:3]
	v_and_or_b32 v0, v19, s6, v18
	v_cmp_ne_u32_e32 vcc, 0, v0
	v_lshrrev_b32_e32 v4, 8, v19
	v_bfe_u32 v6, v19, 20, 11
	v_cndmask_b32_e64 v0, 0, 1, vcc
	v_and_or_b32 v0, v4, s7, v0
	v_sub_u32_e32 v8, 0x3f1, v6
	v_or_b32_e32 v4, 0x1000, v0
	v_med3_i32 v8, v8, 0, 13
	v_lshrrev_b32_e32 v12, v8, v4
	v_lshlrev_b32_e32 v8, v8, v12
	v_cmp_ne_u32_e32 vcc, v8, v4
	v_add_u32_e32 v6, 0xfffffc10, v6
	v_lshl_or_b32 v8, v6, 12, v0
	v_cndmask_b32_e64 v4, 0, 1, vcc
	v_or_b32_e32 v4, v12, v4
	v_cmp_gt_i32_e32 vcc, 1, v6
	s_nop 1
	v_cndmask_b32_e32 v4, v8, v4, vcc
	v_and_b32_e32 v8, 7, v4
	v_cmp_lt_i32_e32 vcc, 5, v8
	v_cmp_eq_u32_e64 s[0:1], 3, v8
	v_lshrrev_b32_e32 v4, 2, v4
	s_or_b64 vcc, s[0:1], vcc
	v_mul_f16_sdwa v8, v45, v10 dst_sel:DWORD dst_unused:UNUSED_PAD src0_sel:WORD_1 src1_sel:DWORD
	v_addc_co_u32_e32 v4, vcc, 0, v4, vcc
	v_fma_f16 v2, v45, v2, -v8
	v_cmp_gt_i32_e32 vcc, 31, v6
	v_cvt_f32_f16_e32 v2, v2
	s_nop 0
	v_cndmask_b32_e32 v4, v14, v4, vcc
	v_cmp_ne_u32_e32 vcc, 0, v0
	s_nop 1
	v_cndmask_b32_e64 v0, 0, 1, vcc
	v_lshl_or_b32 v0, v0, 9, v14
	v_cmp_eq_u32_e32 vcc, s8, v6
	s_nop 1
	v_cndmask_b32_e32 v0, v4, v0, vcc
	v_and_b32_sdwa v4, v19, s9 dst_sel:DWORD dst_unused:UNUSED_PAD src0_sel:WORD_1 src1_sel:DWORD
	v_cvt_f64_f32_e32 v[18:19], v2
	v_mul_f64 v[18:19], v[18:19], s[2:3]
	v_and_or_b32 v2, v19, s6, v18
	v_cmp_ne_u32_e32 vcc, 0, v2
	v_lshrrev_b32_e32 v6, 8, v19
	v_bfe_u32 v8, v19, 20, 11
	v_cndmask_b32_e64 v2, 0, 1, vcc
	v_and_or_b32 v2, v6, s7, v2
	v_sub_u32_e32 v10, 0x3f1, v8
	v_or_b32_e32 v6, 0x1000, v2
	v_med3_i32 v10, v10, 0, 13
	v_lshrrev_b32_e32 v12, v10, v6
	v_lshlrev_b32_e32 v10, v10, v12
	v_cmp_ne_u32_e32 vcc, v10, v6
	v_add_u32_e32 v8, 0xfffffc10, v8
	v_lshl_or_b32 v10, v8, 12, v2
	v_cndmask_b32_e64 v6, 0, 1, vcc
	v_or_b32_e32 v6, v12, v6
	v_cmp_gt_i32_e32 vcc, 1, v8
	ds_read2_b32 v[12:13], v13 offset0:76 offset1:125
	v_bitop3_b32 v0, v4, s14, v0 bitop3:0xc8
	v_cndmask_b32_e32 v6, v10, v6, vcc
	v_and_b32_e32 v10, 7, v6
	v_cmp_lt_i32_e32 vcc, 5, v10
	v_cmp_eq_u32_e64 s[0:1], 3, v10
	v_lshrrev_b32_e32 v6, 2, v6
	s_or_b64 vcc, s[0:1], vcc
	v_addc_co_u32_e32 v6, vcc, 0, v6, vcc
	v_cmp_gt_i32_e32 vcc, 31, v8
	v_mad_u64_u32 v[16:17], s[0:1], s4, v15, v[16:17]
	s_nop 0
	v_cndmask_b32_e32 v6, v14, v6, vcc
	v_cmp_ne_u32_e32 vcc, 0, v2
	v_add_u32_e32 v17, s10, v17
	s_nop 0
	v_cndmask_b32_e64 v2, 0, 1, vcc
	v_lshl_or_b32 v2, v2, 9, v14
	v_cmp_eq_u32_e32 vcc, s8, v8
	s_nop 1
	v_cndmask_b32_e32 v2, v6, v2, vcc
	v_lshrrev_b32_e32 v6, 16, v19
	v_and_or_b32 v2, v6, s9, v2
	v_lshl_or_b32 v0, v2, 16, v0
	s_waitcnt lgkmcnt(0)
	v_lshrrev_b32_e32 v2, 16, v12
	v_mul_f16_sdwa v4, v44, v2 dst_sel:DWORD dst_unused:UNUSED_PAD src0_sel:WORD_1 src1_sel:DWORD
	v_fma_f16 v4, v44, v12, v4
	v_cvt_f32_f16_e32 v4, v4
	global_store_dword v[16:17], v0, off
	v_cvt_f64_f32_e32 v[18:19], v4
	v_mul_f64 v[18:19], v[18:19], s[2:3]
	v_and_or_b32 v0, v19, s6, v18
	v_cmp_ne_u32_e32 vcc, 0, v0
	v_lshrrev_b32_e32 v4, 8, v19
	v_bfe_u32 v6, v19, 20, 11
	v_cndmask_b32_e64 v0, 0, 1, vcc
	v_and_or_b32 v0, v4, s7, v0
	v_sub_u32_e32 v8, 0x3f1, v6
	v_or_b32_e32 v4, 0x1000, v0
	v_med3_i32 v8, v8, 0, 13
	v_lshrrev_b32_e32 v10, v8, v4
	v_lshlrev_b32_e32 v8, v8, v10
	v_cmp_ne_u32_e32 vcc, v8, v4
	v_add_u32_e32 v6, 0xfffffc10, v6
	v_lshl_or_b32 v8, v6, 12, v0
	v_cndmask_b32_e64 v4, 0, 1, vcc
	v_or_b32_e32 v4, v10, v4
	v_cmp_gt_i32_e32 vcc, 1, v6
	s_nop 1
	v_cndmask_b32_e32 v4, v8, v4, vcc
	v_and_b32_e32 v8, 7, v4
	v_cmp_lt_i32_e32 vcc, 5, v8
	v_cmp_eq_u32_e64 s[0:1], 3, v8
	v_lshrrev_b32_e32 v4, 2, v4
	s_or_b64 vcc, s[0:1], vcc
	v_mul_f16_sdwa v8, v44, v12 dst_sel:DWORD dst_unused:UNUSED_PAD src0_sel:WORD_1 src1_sel:DWORD
	v_addc_co_u32_e32 v4, vcc, 0, v4, vcc
	v_fma_f16 v2, v44, v2, -v8
	v_cmp_gt_i32_e32 vcc, 31, v6
	v_cvt_f32_f16_e32 v2, v2
	s_nop 0
	v_cndmask_b32_e32 v4, v14, v4, vcc
	v_cmp_ne_u32_e32 vcc, 0, v0
	s_nop 1
	v_cndmask_b32_e64 v0, 0, 1, vcc
	v_lshl_or_b32 v0, v0, 9, v14
	v_cmp_eq_u32_e32 vcc, s8, v6
	s_nop 1
	v_cndmask_b32_e32 v0, v4, v0, vcc
	v_and_b32_sdwa v4, v19, s9 dst_sel:DWORD dst_unused:UNUSED_PAD src0_sel:WORD_1 src1_sel:DWORD
	v_cvt_f64_f32_e32 v[18:19], v2
	v_mul_f64 v[18:19], v[18:19], s[2:3]
	v_and_or_b32 v2, v19, s6, v18
	v_cmp_ne_u32_e32 vcc, 0, v2
	v_lshrrev_b32_e32 v6, 8, v19
	v_bfe_u32 v8, v19, 20, 11
	v_cndmask_b32_e64 v2, 0, 1, vcc
	v_and_or_b32 v2, v6, s7, v2
	v_sub_u32_e32 v10, 0x3f1, v8
	v_or_b32_e32 v6, 0x1000, v2
	v_med3_i32 v10, v10, 0, 13
	v_lshrrev_b32_e32 v12, v10, v6
	v_lshlrev_b32_e32 v10, v10, v12
	v_cmp_ne_u32_e32 vcc, v10, v6
	v_add_u32_e32 v8, 0xfffffc10, v8
	v_lshl_or_b32 v10, v8, 12, v2
	v_cndmask_b32_e64 v6, 0, 1, vcc
	v_or_b32_e32 v6, v12, v6
	v_cmp_gt_i32_e32 vcc, 1, v8
	v_bitop3_b32 v0, v4, s14, v0 bitop3:0xc8
	s_nop 0
	v_cndmask_b32_e32 v6, v10, v6, vcc
	v_and_b32_e32 v10, 7, v6
	v_cmp_lt_i32_e32 vcc, 5, v10
	v_cmp_eq_u32_e64 s[0:1], 3, v10
	v_lshrrev_b32_e32 v6, 2, v6
	s_or_b64 vcc, s[0:1], vcc
	v_addc_co_u32_e32 v6, vcc, 0, v6, vcc
	v_cmp_gt_i32_e32 vcc, 31, v8
	v_mad_u64_u32 v[16:17], s[0:1], s4, v15, v[16:17]
	s_nop 0
	v_cndmask_b32_e32 v6, v14, v6, vcc
	v_cmp_ne_u32_e32 vcc, 0, v2
	v_add_u32_e32 v17, s10, v17
	s_nop 0
	v_cndmask_b32_e64 v2, 0, 1, vcc
	v_lshl_or_b32 v2, v2, 9, v14
	v_cmp_eq_u32_e32 vcc, s8, v8
	s_nop 1
	v_cndmask_b32_e32 v2, v6, v2, vcc
	v_lshrrev_b32_e32 v6, 16, v19
	v_and_or_b32 v2, v6, s9, v2
	v_lshl_or_b32 v0, v2, 16, v0
	v_lshrrev_b32_e32 v2, 16, v1
	v_mul_f16_sdwa v4, v43, v2 dst_sel:DWORD dst_unused:UNUSED_PAD src0_sel:WORD_1 src1_sel:DWORD
	v_fma_f16 v4, v43, v1, v4
	v_cvt_f32_f16_e32 v4, v4
	global_store_dword v[16:17], v0, off
	v_mul_f16_sdwa v1, v43, v1 dst_sel:DWORD dst_unused:UNUSED_PAD src0_sel:WORD_1 src1_sel:DWORD
	v_fma_f16 v1, v43, v2, -v1
	v_cvt_f64_f32_e32 v[18:19], v4
	v_mul_f64 v[18:19], v[18:19], s[2:3]
	v_and_or_b32 v0, v19, s6, v18
	v_cmp_ne_u32_e32 vcc, 0, v0
	v_lshrrev_b32_e32 v4, 8, v19
	v_bfe_u32 v6, v19, 20, 11
	v_cndmask_b32_e64 v0, 0, 1, vcc
	v_and_or_b32 v0, v4, s7, v0
	v_sub_u32_e32 v8, 0x3f1, v6
	v_or_b32_e32 v4, 0x1000, v0
	v_med3_i32 v8, v8, 0, 13
	v_lshrrev_b32_e32 v10, v8, v4
	v_lshlrev_b32_e32 v8, v8, v10
	v_cmp_ne_u32_e32 vcc, v8, v4
	v_add_u32_e32 v6, 0xfffffc10, v6
	v_lshl_or_b32 v8, v6, 12, v0
	v_cndmask_b32_e64 v4, 0, 1, vcc
	v_or_b32_e32 v4, v10, v4
	v_cmp_gt_i32_e32 vcc, 1, v6
	v_cvt_f32_f16_e32 v1, v1
	s_nop 0
	v_cndmask_b32_e32 v4, v8, v4, vcc
	v_and_b32_e32 v8, 7, v4
	v_cmp_lt_i32_e32 vcc, 5, v8
	v_cmp_eq_u32_e64 s[0:1], 3, v8
	v_lshrrev_b32_e32 v4, 2, v4
	s_or_b64 vcc, s[0:1], vcc
	v_addc_co_u32_e32 v4, vcc, 0, v4, vcc
	v_cmp_gt_i32_e32 vcc, 31, v6
	s_nop 1
	v_cndmask_b32_e32 v4, v14, v4, vcc
	v_cmp_ne_u32_e32 vcc, 0, v0
	s_nop 1
	v_cndmask_b32_e64 v0, 0, 1, vcc
	v_lshl_or_b32 v0, v0, 9, v14
	v_cmp_eq_u32_e32 vcc, s8, v6
	s_nop 1
	v_cndmask_b32_e32 v2, v4, v0, vcc
	v_cvt_f64_f32_e32 v[0:1], v1
	v_mul_f64 v[0:1], v[0:1], s[2:3]
	v_and_or_b32 v0, v1, s6, v0
	v_cmp_ne_u32_e32 vcc, 0, v0
	v_lshrrev_b32_e32 v6, 8, v1
	v_bfe_u32 v8, v1, 20, 11
	v_cndmask_b32_e64 v0, 0, 1, vcc
	v_and_or_b32 v0, v6, s7, v0
	v_sub_u32_e32 v10, 0x3f1, v8
	v_or_b32_e32 v6, 0x1000, v0
	v_med3_i32 v10, v10, 0, 13
	v_lshrrev_b32_e32 v12, v10, v6
	v_lshlrev_b32_e32 v10, v10, v12
	v_cmp_ne_u32_e32 vcc, v10, v6
	v_add_u32_e32 v8, 0xfffffc10, v8
	v_lshl_or_b32 v10, v8, 12, v0
	v_cndmask_b32_e64 v6, 0, 1, vcc
	v_or_b32_e32 v6, v12, v6
	v_cmp_gt_i32_e32 vcc, 1, v8
	v_and_b32_sdwa v4, v19, s9 dst_sel:DWORD dst_unused:UNUSED_PAD src0_sel:WORD_1 src1_sel:DWORD
	v_lshrrev_b32_e32 v1, 16, v1
	v_cndmask_b32_e32 v6, v10, v6, vcc
	v_and_b32_e32 v10, 7, v6
	v_cmp_lt_i32_e32 vcc, 5, v10
	v_cmp_eq_u32_e64 s[0:1], 3, v10
	v_lshrrev_b32_e32 v6, 2, v6
	s_or_b64 vcc, s[0:1], vcc
	v_addc_co_u32_e32 v6, vcc, 0, v6, vcc
	v_cmp_gt_i32_e32 vcc, 31, v8
	s_nop 1
	v_cndmask_b32_e32 v6, v14, v6, vcc
	v_cmp_ne_u32_e32 vcc, 0, v0
	s_nop 1
	v_cndmask_b32_e64 v0, 0, 1, vcc
	v_lshl_or_b32 v0, v0, 9, v14
	v_cmp_eq_u32_e32 vcc, s8, v8
	s_nop 1
	v_cndmask_b32_e32 v0, v6, v0, vcc
	v_and_or_b32 v0, v1, s9, v0
	v_bitop3_b32 v1, v4, s14, v2 bitop3:0xc8
	v_lshrrev_b32_e32 v4, 16, v3
	v_mul_f16_sdwa v6, v42, v4 dst_sel:DWORD dst_unused:UNUSED_PAD src0_sel:WORD_1 src1_sel:DWORD
	v_fma_f16 v6, v42, v3, v6
	v_cvt_f32_f16_e32 v6, v6
	v_lshl_or_b32 v2, v0, 16, v1
	v_mad_u64_u32 v[0:1], s[0:1], s4, v41, v[16:17]
	s_mul_i32 s0, s5, 0xfffff794
	s_sub_i32 s0, s0, s4
	v_cvt_f64_f32_e32 v[16:17], v6
	v_add_u32_e32 v1, s0, v1
	v_mul_f64 v[16:17], v[16:17], s[2:3]
	global_store_dword v[0:1], v2, off
	v_and_or_b32 v2, v17, s6, v16
	v_cmp_ne_u32_e32 vcc, 0, v2
	v_lshrrev_b32_e32 v6, 8, v17
	v_bfe_u32 v8, v17, 20, 11
	v_cndmask_b32_e64 v2, 0, 1, vcc
	v_and_or_b32 v2, v6, s7, v2
	v_sub_u32_e32 v10, 0x3f1, v8
	v_or_b32_e32 v6, 0x1000, v2
	v_med3_i32 v10, v10, 0, 13
	v_lshrrev_b32_e32 v12, v10, v6
	v_lshlrev_b32_e32 v10, v10, v12
	v_cmp_ne_u32_e32 vcc, v10, v6
	v_add_u32_e32 v8, 0xfffffc10, v8
	v_lshl_or_b32 v10, v8, 12, v2
	v_cndmask_b32_e64 v6, 0, 1, vcc
	v_or_b32_e32 v6, v12, v6
	v_cmp_gt_i32_e32 vcc, 1, v8
	v_mul_f16_sdwa v3, v42, v3 dst_sel:DWORD dst_unused:UNUSED_PAD src0_sel:WORD_1 src1_sel:DWORD
	v_fma_f16 v3, v42, v4, -v3
	v_cndmask_b32_e32 v6, v10, v6, vcc
	v_and_b32_e32 v10, 7, v6
	v_cmp_lt_i32_e32 vcc, 5, v10
	v_cmp_eq_u32_e64 s[0:1], 3, v10
	v_lshrrev_b32_e32 v6, 2, v6
	s_or_b64 vcc, s[0:1], vcc
	v_addc_co_u32_e32 v6, vcc, 0, v6, vcc
	v_cmp_gt_i32_e32 vcc, 31, v8
	v_cvt_f32_f16_e32 v3, v3
	s_nop 0
	v_cndmask_b32_e32 v6, v14, v6, vcc
	v_cmp_ne_u32_e32 vcc, 0, v2
	s_nop 1
	v_cndmask_b32_e64 v2, 0, 1, vcc
	v_lshl_or_b32 v2, v2, 9, v14
	v_cmp_eq_u32_e32 vcc, s8, v8
	s_nop 1
	v_cndmask_b32_e32 v4, v6, v2, vcc
	v_cvt_f64_f32_e32 v[2:3], v3
	v_mul_f64 v[2:3], v[2:3], s[2:3]
	v_and_or_b32 v2, v3, s6, v2
	v_cmp_ne_u32_e32 vcc, 0, v2
	v_lshrrev_b32_e32 v8, 8, v3
	v_bfe_u32 v10, v3, 20, 11
	v_cndmask_b32_e64 v2, 0, 1, vcc
	v_and_or_b32 v2, v8, s7, v2
	v_sub_u32_e32 v12, 0x3f1, v10
	v_or_b32_e32 v8, 0x1000, v2
	v_med3_i32 v12, v12, 0, 13
	v_lshrrev_b32_e32 v16, v12, v8
	v_lshlrev_b32_e32 v12, v12, v16
	v_cmp_ne_u32_e32 vcc, v12, v8
	v_add_u32_e32 v10, 0xfffffc10, v10
	v_lshl_or_b32 v12, v10, 12, v2
	v_cndmask_b32_e64 v8, 0, 1, vcc
	v_or_b32_e32 v8, v16, v8
	v_cmp_gt_i32_e32 vcc, 1, v10
	v_and_b32_sdwa v6, v17, s9 dst_sel:DWORD dst_unused:UNUSED_PAD src0_sel:WORD_1 src1_sel:DWORD
	v_lshrrev_b32_e32 v3, 16, v3
	v_cndmask_b32_e32 v8, v12, v8, vcc
	v_and_b32_e32 v12, 7, v8
	v_cmp_lt_i32_e32 vcc, 5, v12
	v_cmp_eq_u32_e64 s[0:1], 3, v12
	v_lshrrev_b32_e32 v8, 2, v8
	s_or_b64 vcc, s[0:1], vcc
	v_addc_co_u32_e32 v8, vcc, 0, v8, vcc
	v_cmp_gt_i32_e32 vcc, 31, v10
	v_mad_u64_u32 v[0:1], s[0:1], s4, v15, v[0:1]
	s_nop 0
	v_cndmask_b32_e32 v8, v14, v8, vcc
	v_cmp_ne_u32_e32 vcc, 0, v2
	v_add_u32_e32 v1, s10, v1
	s_nop 0
	v_cndmask_b32_e64 v2, 0, 1, vcc
	v_lshl_or_b32 v2, v2, 9, v14
	v_cmp_eq_u32_e32 vcc, s8, v10
	s_nop 1
	v_cndmask_b32_e32 v2, v8, v2, vcc
	v_and_or_b32 v2, v3, s9, v2
	v_bitop3_b32 v3, v6, s14, v4 bitop3:0xc8
	v_lshrrev_b32_e32 v4, 16, v5
	v_lshl_or_b32 v2, v2, 16, v3
	v_mul_f16_sdwa v3, v40, v4 dst_sel:DWORD dst_unused:UNUSED_PAD src0_sel:WORD_1 src1_sel:DWORD
	v_fma_f16 v3, v40, v5, v3
	v_cvt_f32_f16_e32 v3, v3
	global_store_dword v[0:1], v2, off
	v_mul_f16_sdwa v5, v40, v5 dst_sel:DWORD dst_unused:UNUSED_PAD src0_sel:WORD_1 src1_sel:DWORD
	v_fma_f16 v4, v40, v4, -v5
	v_cvt_f64_f32_e32 v[2:3], v3
	v_mul_f64 v[2:3], v[2:3], s[2:3]
	v_and_or_b32 v2, v3, s6, v2
	v_cmp_ne_u32_e32 vcc, 0, v2
	v_lshrrev_b32_e32 v6, 8, v3
	v_bfe_u32 v8, v3, 20, 11
	v_cndmask_b32_e64 v2, 0, 1, vcc
	v_and_or_b32 v2, v6, s7, v2
	v_sub_u32_e32 v10, 0x3f1, v8
	v_or_b32_e32 v6, 0x1000, v2
	v_med3_i32 v10, v10, 0, 13
	v_lshrrev_b32_e32 v12, v10, v6
	v_lshlrev_b32_e32 v10, v10, v12
	v_cmp_ne_u32_e32 vcc, v10, v6
	v_add_u32_e32 v8, 0xfffffc10, v8
	v_lshl_or_b32 v10, v8, 12, v2
	v_cndmask_b32_e64 v6, 0, 1, vcc
	v_or_b32_e32 v6, v12, v6
	v_cmp_gt_i32_e32 vcc, 1, v8
	v_cvt_f32_f16_e32 v4, v4
	s_nop 0
	v_cndmask_b32_e32 v6, v10, v6, vcc
	v_and_b32_e32 v10, 7, v6
	v_cmp_lt_i32_e32 vcc, 5, v10
	v_cmp_eq_u32_e64 s[0:1], 3, v10
	v_lshrrev_b32_e32 v6, 2, v6
	s_or_b64 vcc, s[0:1], vcc
	v_addc_co_u32_e32 v6, vcc, 0, v6, vcc
	v_cmp_gt_i32_e32 vcc, 31, v8
	s_nop 1
	v_cndmask_b32_e32 v6, v14, v6, vcc
	v_cmp_ne_u32_e32 vcc, 0, v2
	s_nop 1
	v_cndmask_b32_e64 v2, 0, 1, vcc
	v_lshl_or_b32 v2, v2, 9, v14
	v_cmp_eq_u32_e32 vcc, s8, v8
	s_nop 1
	v_cndmask_b32_e32 v5, v6, v2, vcc
	v_and_b32_sdwa v6, v3, s9 dst_sel:DWORD dst_unused:UNUSED_PAD src0_sel:WORD_1 src1_sel:DWORD
	v_cvt_f64_f32_e32 v[2:3], v4
	v_mul_f64 v[2:3], v[2:3], s[2:3]
	v_and_or_b32 v2, v3, s6, v2
	v_cmp_ne_u32_e32 vcc, 0, v2
	v_lshrrev_b32_e32 v4, 8, v3
	v_bfe_u32 v8, v3, 20, 11
	v_cndmask_b32_e64 v2, 0, 1, vcc
	v_and_or_b32 v2, v4, s7, v2
	v_sub_u32_e32 v10, 0x3f1, v8
	v_or_b32_e32 v4, 0x1000, v2
	v_med3_i32 v10, v10, 0, 13
	v_lshrrev_b32_e32 v12, v10, v4
	v_lshlrev_b32_e32 v10, v10, v12
	v_cmp_ne_u32_e32 vcc, v10, v4
	v_add_u32_e32 v8, 0xfffffc10, v8
	v_lshl_or_b32 v10, v8, 12, v2
	v_cndmask_b32_e64 v4, 0, 1, vcc
	v_or_b32_e32 v4, v12, v4
	v_cmp_gt_i32_e32 vcc, 1, v8
	v_lshrrev_b32_e32 v3, 16, v3
	s_nop 0
	v_cndmask_b32_e32 v4, v10, v4, vcc
	v_and_b32_e32 v10, 7, v4
	v_cmp_lt_i32_e32 vcc, 5, v10
	v_cmp_eq_u32_e64 s[0:1], 3, v10
	v_lshrrev_b32_e32 v4, 2, v4
	s_or_b64 vcc, s[0:1], vcc
	v_addc_co_u32_e32 v4, vcc, 0, v4, vcc
	v_cmp_gt_i32_e32 vcc, 31, v8
	v_mad_u64_u32 v[0:1], s[0:1], s4, v15, v[0:1]
	s_nop 0
	v_cndmask_b32_e32 v4, v14, v4, vcc
	v_cmp_ne_u32_e32 vcc, 0, v2
	v_add_u32_e32 v1, s10, v1
	s_nop 0
	v_cndmask_b32_e64 v2, 0, 1, vcc
	v_lshl_or_b32 v2, v2, 9, v14
	v_cmp_eq_u32_e32 vcc, s8, v8
	s_nop 1
	v_cndmask_b32_e32 v2, v4, v2, vcc
	v_and_or_b32 v2, v3, s9, v2
	v_bitop3_b32 v3, v6, s14, v5 bitop3:0xc8
	v_lshrrev_b32_e32 v4, 16, v7
	v_lshl_or_b32 v2, v2, 16, v3
	v_mul_f16_sdwa v3, v39, v4 dst_sel:DWORD dst_unused:UNUSED_PAD src0_sel:WORD_1 src1_sel:DWORD
	v_fma_f16 v3, v39, v7, v3
	v_cvt_f32_f16_e32 v3, v3
	global_store_dword v[0:1], v2, off
	v_mul_f16_sdwa v7, v39, v7 dst_sel:DWORD dst_unused:UNUSED_PAD src0_sel:WORD_1 src1_sel:DWORD
	v_fma_f16 v4, v39, v4, -v7
	v_cvt_f64_f32_e32 v[2:3], v3
	v_mul_f64 v[2:3], v[2:3], s[2:3]
	v_and_or_b32 v2, v3, s6, v2
	v_cmp_ne_u32_e32 vcc, 0, v2
	v_lshrrev_b32_e32 v5, 8, v3
	v_bfe_u32 v6, v3, 20, 11
	v_cndmask_b32_e64 v2, 0, 1, vcc
	v_and_or_b32 v2, v5, s7, v2
	v_sub_u32_e32 v8, 0x3f1, v6
	v_or_b32_e32 v5, 0x1000, v2
	v_med3_i32 v8, v8, 0, 13
	v_lshrrev_b32_e32 v10, v8, v5
	v_lshlrev_b32_e32 v8, v8, v10
	v_cmp_ne_u32_e32 vcc, v8, v5
	v_add_u32_e32 v6, 0xfffffc10, v6
	v_lshl_or_b32 v8, v6, 12, v2
	v_cndmask_b32_e64 v5, 0, 1, vcc
	v_or_b32_e32 v5, v10, v5
	v_cmp_gt_i32_e32 vcc, 1, v6
	v_cvt_f32_f16_e32 v4, v4
	s_nop 0
	v_cndmask_b32_e32 v5, v8, v5, vcc
	v_and_b32_e32 v8, 7, v5
	v_cmp_lt_i32_e32 vcc, 5, v8
	v_cmp_eq_u32_e64 s[0:1], 3, v8
	v_lshrrev_b32_e32 v5, 2, v5
	s_or_b64 vcc, s[0:1], vcc
	v_addc_co_u32_e32 v5, vcc, 0, v5, vcc
	v_cmp_gt_i32_e32 vcc, 31, v6
	s_nop 1
	v_cndmask_b32_e32 v5, v14, v5, vcc
	v_cmp_ne_u32_e32 vcc, 0, v2
	s_nop 1
	v_cndmask_b32_e64 v2, 0, 1, vcc
	v_lshl_or_b32 v2, v2, 9, v14
	v_cmp_eq_u32_e32 vcc, s8, v6
	v_and_b32_sdwa v6, v3, s9 dst_sel:DWORD dst_unused:UNUSED_PAD src0_sel:WORD_1 src1_sel:DWORD
	s_nop 0
	v_cndmask_b32_e32 v5, v5, v2, vcc
	v_cvt_f64_f32_e32 v[2:3], v4
	v_mul_f64 v[2:3], v[2:3], s[2:3]
	v_and_or_b32 v2, v3, s6, v2
	v_cmp_ne_u32_e32 vcc, 0, v2
	v_lshrrev_b32_e32 v4, 8, v3
	v_bfe_u32 v7, v3, 20, 11
	v_cndmask_b32_e64 v2, 0, 1, vcc
	v_and_or_b32 v2, v4, s7, v2
	v_sub_u32_e32 v8, 0x3f1, v7
	v_or_b32_e32 v4, 0x1000, v2
	v_med3_i32 v8, v8, 0, 13
	v_lshrrev_b32_e32 v10, v8, v4
	v_lshlrev_b32_e32 v8, v8, v10
	v_cmp_ne_u32_e32 vcc, v8, v4
	v_add_u32_e32 v7, 0xfffffc10, v7
	v_lshl_or_b32 v8, v7, 12, v2
	v_cndmask_b32_e64 v4, 0, 1, vcc
	v_or_b32_e32 v4, v10, v4
	v_cmp_gt_i32_e32 vcc, 1, v7
	v_lshrrev_b32_e32 v3, 16, v3
	s_nop 0
	v_cndmask_b32_e32 v4, v8, v4, vcc
	v_and_b32_e32 v8, 7, v4
	v_cmp_lt_i32_e32 vcc, 5, v8
	v_cmp_eq_u32_e64 s[0:1], 3, v8
	v_lshrrev_b32_e32 v4, 2, v4
	s_or_b64 vcc, s[0:1], vcc
	v_addc_co_u32_e32 v4, vcc, 0, v4, vcc
	v_cmp_gt_i32_e32 vcc, 31, v7
	v_mad_u64_u32 v[0:1], s[0:1], s4, v15, v[0:1]
	s_nop 0
	v_cndmask_b32_e32 v4, v14, v4, vcc
	v_cmp_ne_u32_e32 vcc, 0, v2
	v_add_u32_e32 v1, s10, v1
	s_nop 0
	v_cndmask_b32_e64 v2, 0, 1, vcc
	v_lshl_or_b32 v2, v2, 9, v14
	v_cmp_eq_u32_e32 vcc, s8, v7
	s_nop 1
	v_cndmask_b32_e32 v2, v4, v2, vcc
	v_and_or_b32 v2, v3, s9, v2
	v_bitop3_b32 v3, v6, s14, v5 bitop3:0xc8
	v_lshrrev_b32_e32 v4, 16, v9
	v_lshl_or_b32 v2, v2, 16, v3
	v_mul_f16_sdwa v3, v38, v4 dst_sel:DWORD dst_unused:UNUSED_PAD src0_sel:WORD_1 src1_sel:DWORD
	v_fma_f16 v3, v38, v9, v3
	v_cvt_f32_f16_e32 v3, v3
	global_store_dword v[0:1], v2, off
	v_cvt_f64_f32_e32 v[2:3], v3
	v_mul_f64 v[2:3], v[2:3], s[2:3]
	v_and_or_b32 v2, v3, s6, v2
	v_cmp_ne_u32_e32 vcc, 0, v2
	v_lshrrev_b32_e32 v5, 8, v3
	v_bfe_u32 v6, v3, 20, 11
	v_cndmask_b32_e64 v2, 0, 1, vcc
	v_and_or_b32 v2, v5, s7, v2
	v_sub_u32_e32 v7, 0x3f1, v6
	v_or_b32_e32 v5, 0x1000, v2
	v_med3_i32 v7, v7, 0, 13
	v_lshrrev_b32_e32 v8, v7, v5
	v_lshlrev_b32_e32 v7, v7, v8
	v_cmp_ne_u32_e32 vcc, v7, v5
	v_add_u32_e32 v6, 0xfffffc10, v6
	v_lshl_or_b32 v7, v6, 12, v2
	v_cndmask_b32_e64 v5, 0, 1, vcc
	v_or_b32_e32 v5, v8, v5
	v_cmp_gt_i32_e32 vcc, 1, v6
	s_nop 1
	v_cndmask_b32_e32 v5, v7, v5, vcc
	v_and_b32_e32 v7, 7, v5
	v_cmp_lt_i32_e32 vcc, 5, v7
	v_cmp_eq_u32_e64 s[0:1], 3, v7
	v_lshrrev_b32_e32 v5, 2, v5
	s_or_b64 vcc, s[0:1], vcc
	v_mul_f16_sdwa v7, v38, v9 dst_sel:DWORD dst_unused:UNUSED_PAD src0_sel:WORD_1 src1_sel:DWORD
	v_addc_co_u32_e32 v5, vcc, 0, v5, vcc
	v_fma_f16 v4, v38, v4, -v7
	v_cmp_gt_i32_e32 vcc, 31, v6
	v_cvt_f32_f16_e32 v4, v4
	s_nop 0
	v_cndmask_b32_e32 v5, v14, v5, vcc
	v_cmp_ne_u32_e32 vcc, 0, v2
	s_nop 1
	v_cndmask_b32_e64 v2, 0, 1, vcc
	v_lshl_or_b32 v2, v2, 9, v14
	v_cmp_eq_u32_e32 vcc, s8, v6
	v_and_b32_sdwa v6, v3, s9 dst_sel:DWORD dst_unused:UNUSED_PAD src0_sel:WORD_1 src1_sel:DWORD
	s_nop 0
	v_cndmask_b32_e32 v5, v5, v2, vcc
	v_cvt_f64_f32_e32 v[2:3], v4
	v_mul_f64 v[2:3], v[2:3], s[2:3]
	v_and_or_b32 v2, v3, s6, v2
	v_cmp_ne_u32_e32 vcc, 0, v2
	v_lshrrev_b32_e32 v4, 8, v3
	v_bfe_u32 v7, v3, 20, 11
	v_cndmask_b32_e64 v2, 0, 1, vcc
	v_and_or_b32 v2, v4, s7, v2
	v_sub_u32_e32 v8, 0x3f1, v7
	v_or_b32_e32 v4, 0x1000, v2
	v_med3_i32 v8, v8, 0, 13
	v_lshrrev_b32_e32 v9, v8, v4
	v_lshlrev_b32_e32 v8, v8, v9
	v_cmp_ne_u32_e32 vcc, v8, v4
	v_add_u32_e32 v7, 0xfffffc10, v7
	v_lshl_or_b32 v8, v7, 12, v2
	v_cndmask_b32_e64 v4, 0, 1, vcc
	v_or_b32_e32 v4, v9, v4
	v_cmp_gt_i32_e32 vcc, 1, v7
	v_lshrrev_b32_e32 v3, 16, v3
	s_nop 0
	v_cndmask_b32_e32 v4, v8, v4, vcc
	v_and_b32_e32 v8, 7, v4
	v_cmp_lt_i32_e32 vcc, 5, v8
	v_cmp_eq_u32_e64 s[0:1], 3, v8
	v_lshrrev_b32_e32 v4, 2, v4
	s_or_b64 vcc, s[0:1], vcc
	v_addc_co_u32_e32 v4, vcc, 0, v4, vcc
	v_cmp_gt_i32_e32 vcc, 31, v7
	v_mad_u64_u32 v[0:1], s[0:1], s4, v15, v[0:1]
	s_nop 0
	v_cndmask_b32_e32 v4, v14, v4, vcc
	v_cmp_ne_u32_e32 vcc, 0, v2
	v_add_u32_e32 v1, s10, v1
	s_nop 0
	v_cndmask_b32_e64 v2, 0, 1, vcc
	v_lshl_or_b32 v2, v2, 9, v14
	v_cmp_eq_u32_e32 vcc, s8, v7
	s_nop 1
	v_cndmask_b32_e32 v2, v4, v2, vcc
	v_and_or_b32 v2, v3, s9, v2
	v_bitop3_b32 v3, v6, s14, v5 bitop3:0xc8
	v_lshrrev_b32_e32 v4, 16, v11
	v_lshl_or_b32 v2, v2, 16, v3
	v_mul_f16_sdwa v3, v37, v4 dst_sel:DWORD dst_unused:UNUSED_PAD src0_sel:WORD_1 src1_sel:DWORD
	v_fma_f16 v3, v37, v11, v3
	v_cvt_f32_f16_e32 v3, v3
	global_store_dword v[0:1], v2, off
	v_cvt_f64_f32_e32 v[2:3], v3
	v_mul_f64 v[2:3], v[2:3], s[2:3]
	v_and_or_b32 v2, v3, s6, v2
	v_cmp_ne_u32_e32 vcc, 0, v2
	v_lshrrev_b32_e32 v5, 8, v3
	v_bfe_u32 v6, v3, 20, 11
	v_cndmask_b32_e64 v2, 0, 1, vcc
	v_and_or_b32 v2, v5, s7, v2
	v_sub_u32_e32 v7, 0x3f1, v6
	v_or_b32_e32 v5, 0x1000, v2
	v_med3_i32 v7, v7, 0, 13
	v_lshrrev_b32_e32 v8, v7, v5
	v_lshlrev_b32_e32 v7, v7, v8
	v_cmp_ne_u32_e32 vcc, v7, v5
	v_add_u32_e32 v6, 0xfffffc10, v6
	v_lshl_or_b32 v7, v6, 12, v2
	v_cndmask_b32_e64 v5, 0, 1, vcc
	v_or_b32_e32 v5, v8, v5
	v_cmp_gt_i32_e32 vcc, 1, v6
	s_nop 1
	v_cndmask_b32_e32 v5, v7, v5, vcc
	v_and_b32_e32 v7, 7, v5
	v_cmp_lt_i32_e32 vcc, 5, v7
	v_cmp_eq_u32_e64 s[0:1], 3, v7
	v_lshrrev_b32_e32 v5, 2, v5
	s_or_b64 vcc, s[0:1], vcc
	v_mul_f16_sdwa v7, v37, v11 dst_sel:DWORD dst_unused:UNUSED_PAD src0_sel:WORD_1 src1_sel:DWORD
	v_addc_co_u32_e32 v5, vcc, 0, v5, vcc
	v_fma_f16 v4, v37, v4, -v7
	v_cmp_gt_i32_e32 vcc, 31, v6
	v_cvt_f32_f16_e32 v4, v4
	s_nop 0
	v_cndmask_b32_e32 v5, v14, v5, vcc
	v_cmp_ne_u32_e32 vcc, 0, v2
	s_nop 1
	v_cndmask_b32_e64 v2, 0, 1, vcc
	v_lshl_or_b32 v2, v2, 9, v14
	v_cmp_eq_u32_e32 vcc, s8, v6
	v_and_b32_sdwa v6, v3, s9 dst_sel:DWORD dst_unused:UNUSED_PAD src0_sel:WORD_1 src1_sel:DWORD
	s_nop 0
	v_cndmask_b32_e32 v5, v5, v2, vcc
	v_cvt_f64_f32_e32 v[2:3], v4
	v_mul_f64 v[2:3], v[2:3], s[2:3]
	v_and_or_b32 v2, v3, s6, v2
	v_cmp_ne_u32_e32 vcc, 0, v2
	v_lshrrev_b32_e32 v4, 8, v3
	v_bfe_u32 v7, v3, 20, 11
	v_cndmask_b32_e64 v2, 0, 1, vcc
	v_and_or_b32 v2, v4, s7, v2
	v_sub_u32_e32 v8, 0x3f1, v7
	v_or_b32_e32 v4, 0x1000, v2
	v_med3_i32 v8, v8, 0, 13
	v_lshrrev_b32_e32 v9, v8, v4
	v_lshlrev_b32_e32 v8, v8, v9
	v_cmp_ne_u32_e32 vcc, v8, v4
	v_add_u32_e32 v7, 0xfffffc10, v7
	v_lshl_or_b32 v8, v7, 12, v2
	v_cndmask_b32_e64 v4, 0, 1, vcc
	v_or_b32_e32 v4, v9, v4
	v_cmp_gt_i32_e32 vcc, 1, v7
	v_lshrrev_b32_e32 v3, 16, v3
	s_nop 0
	v_cndmask_b32_e32 v4, v8, v4, vcc
	v_and_b32_e32 v8, 7, v4
	v_cmp_lt_i32_e32 vcc, 5, v8
	v_cmp_eq_u32_e64 s[0:1], 3, v8
	v_lshrrev_b32_e32 v4, 2, v4
	s_or_b64 vcc, s[0:1], vcc
	v_addc_co_u32_e32 v4, vcc, 0, v4, vcc
	v_cmp_gt_i32_e32 vcc, 31, v7
	v_mad_u64_u32 v[0:1], s[0:1], s4, v15, v[0:1]
	s_nop 0
	v_cndmask_b32_e32 v4, v14, v4, vcc
	v_cmp_ne_u32_e32 vcc, 0, v2
	v_add_u32_e32 v1, s10, v1
	s_nop 0
	v_cndmask_b32_e64 v2, 0, 1, vcc
	v_lshl_or_b32 v2, v2, 9, v14
	v_cmp_eq_u32_e32 vcc, s8, v7
	s_nop 1
	v_cndmask_b32_e32 v2, v4, v2, vcc
	v_and_or_b32 v2, v3, s9, v2
	v_bitop3_b32 v3, v6, s14, v5 bitop3:0xc8
	v_lshrrev_b32_e32 v4, 16, v13
	v_lshl_or_b32 v2, v2, 16, v3
	v_mul_f16_sdwa v3, v36, v4 dst_sel:DWORD dst_unused:UNUSED_PAD src0_sel:WORD_1 src1_sel:DWORD
	v_fma_f16 v3, v36, v13, v3
	v_cvt_f32_f16_e32 v3, v3
	global_store_dword v[0:1], v2, off
	v_cvt_f64_f32_e32 v[2:3], v3
	v_mul_f64 v[2:3], v[2:3], s[2:3]
	v_and_or_b32 v2, v3, s6, v2
	v_cmp_ne_u32_e32 vcc, 0, v2
	v_lshrrev_b32_e32 v5, 8, v3
	v_bfe_u32 v6, v3, 20, 11
	v_cndmask_b32_e64 v2, 0, 1, vcc
	v_and_or_b32 v2, v5, s7, v2
	v_sub_u32_e32 v7, 0x3f1, v6
	v_or_b32_e32 v5, 0x1000, v2
	v_med3_i32 v7, v7, 0, 13
	v_lshrrev_b32_e32 v8, v7, v5
	v_lshlrev_b32_e32 v7, v7, v8
	v_cmp_ne_u32_e32 vcc, v7, v5
	v_add_u32_e32 v6, 0xfffffc10, v6
	v_lshl_or_b32 v7, v6, 12, v2
	v_cndmask_b32_e64 v5, 0, 1, vcc
	v_or_b32_e32 v5, v8, v5
	v_cmp_gt_i32_e32 vcc, 1, v6
	s_nop 1
	v_cndmask_b32_e32 v5, v7, v5, vcc
	v_and_b32_e32 v7, 7, v5
	v_cmp_lt_i32_e32 vcc, 5, v7
	v_cmp_eq_u32_e64 s[0:1], 3, v7
	v_lshrrev_b32_e32 v5, 2, v5
	s_or_b64 vcc, s[0:1], vcc
	v_mul_f16_sdwa v7, v36, v13 dst_sel:DWORD dst_unused:UNUSED_PAD src0_sel:WORD_1 src1_sel:DWORD
	v_addc_co_u32_e32 v5, vcc, 0, v5, vcc
	v_fma_f16 v4, v36, v4, -v7
	v_cmp_gt_i32_e32 vcc, 31, v6
	v_cvt_f32_f16_e32 v4, v4
	s_nop 0
	v_cndmask_b32_e32 v5, v14, v5, vcc
	v_cmp_ne_u32_e32 vcc, 0, v2
	s_nop 1
	v_cndmask_b32_e64 v2, 0, 1, vcc
	v_lshl_or_b32 v2, v2, 9, v14
	v_cmp_eq_u32_e32 vcc, s8, v6
	v_and_b32_sdwa v6, v3, s9 dst_sel:DWORD dst_unused:UNUSED_PAD src0_sel:WORD_1 src1_sel:DWORD
	s_nop 0
	v_cndmask_b32_e32 v5, v5, v2, vcc
	v_cvt_f64_f32_e32 v[2:3], v4
	v_mul_f64 v[2:3], v[2:3], s[2:3]
	v_and_or_b32 v2, v3, s6, v2
	v_cmp_ne_u32_e32 vcc, 0, v2
	v_lshrrev_b32_e32 v4, 8, v3
	v_bfe_u32 v7, v3, 20, 11
	v_cndmask_b32_e64 v2, 0, 1, vcc
	v_and_or_b32 v2, v4, s7, v2
	v_sub_u32_e32 v8, 0x3f1, v7
	v_or_b32_e32 v4, 0x1000, v2
	v_med3_i32 v8, v8, 0, 13
	v_lshrrev_b32_e32 v9, v8, v4
	v_lshlrev_b32_e32 v8, v8, v9
	v_cmp_ne_u32_e32 vcc, v8, v4
	v_add_u32_e32 v7, 0xfffffc10, v7
	v_lshl_or_b32 v8, v7, 12, v2
	v_cndmask_b32_e64 v4, 0, 1, vcc
	v_or_b32_e32 v4, v9, v4
	v_cmp_gt_i32_e32 vcc, 1, v7
	v_lshrrev_b32_e32 v3, 16, v3
	s_nop 0
	v_cndmask_b32_e32 v4, v8, v4, vcc
	v_and_b32_e32 v8, 7, v4
	v_cmp_lt_i32_e32 vcc, 5, v8
	v_cmp_eq_u32_e64 s[0:1], 3, v8
	v_lshrrev_b32_e32 v4, 2, v4
	s_or_b64 vcc, s[0:1], vcc
	v_addc_co_u32_e32 v4, vcc, 0, v4, vcc
	v_cmp_gt_i32_e32 vcc, 31, v7
	v_mad_u64_u32 v[0:1], s[0:1], s4, v15, v[0:1]
	s_nop 0
	v_cndmask_b32_e32 v4, v14, v4, vcc
	v_cmp_ne_u32_e32 vcc, 0, v2
	v_add_u32_e32 v1, s10, v1
	s_nop 0
	v_cndmask_b32_e64 v2, 0, 1, vcc
	v_lshl_or_b32 v2, v2, 9, v14
	v_cmp_eq_u32_e32 vcc, s8, v7
	s_nop 1
	v_cndmask_b32_e32 v2, v4, v2, vcc
	v_and_or_b32 v2, v3, s9, v2
	v_bitop3_b32 v3, v6, s14, v5 bitop3:0xc8
	v_lshl_or_b32 v2, v2, 16, v3
	global_store_dword v[0:1], v2, off
.LBB0_2:
	s_endpgm
	.section	.rodata,"a",@progbits
	.p2align	6, 0x0
	.amdhsa_kernel bluestein_single_fwd_len686_dim1_half_op_CI_CI
		.amdhsa_group_segment_fixed_size 2744
		.amdhsa_private_segment_fixed_size 0
		.amdhsa_kernarg_size 104
		.amdhsa_user_sgpr_count 2
		.amdhsa_user_sgpr_dispatch_ptr 0
		.amdhsa_user_sgpr_queue_ptr 0
		.amdhsa_user_sgpr_kernarg_segment_ptr 1
		.amdhsa_user_sgpr_dispatch_id 0
		.amdhsa_user_sgpr_kernarg_preload_length 0
		.amdhsa_user_sgpr_kernarg_preload_offset 0
		.amdhsa_user_sgpr_private_segment_size 0
		.amdhsa_uses_dynamic_stack 0
		.amdhsa_enable_private_segment 0
		.amdhsa_system_sgpr_workgroup_id_x 1
		.amdhsa_system_sgpr_workgroup_id_y 0
		.amdhsa_system_sgpr_workgroup_id_z 0
		.amdhsa_system_sgpr_workgroup_info 0
		.amdhsa_system_vgpr_workitem_id 0
		.amdhsa_next_free_vgpr 80
		.amdhsa_next_free_sgpr 23
		.amdhsa_accum_offset 80
		.amdhsa_reserve_vcc 1
		.amdhsa_float_round_mode_32 0
		.amdhsa_float_round_mode_16_64 0
		.amdhsa_float_denorm_mode_32 3
		.amdhsa_float_denorm_mode_16_64 3
		.amdhsa_dx10_clamp 1
		.amdhsa_ieee_mode 1
		.amdhsa_fp16_overflow 0
		.amdhsa_tg_split 0
		.amdhsa_exception_fp_ieee_invalid_op 0
		.amdhsa_exception_fp_denorm_src 0
		.amdhsa_exception_fp_ieee_div_zero 0
		.amdhsa_exception_fp_ieee_overflow 0
		.amdhsa_exception_fp_ieee_underflow 0
		.amdhsa_exception_fp_ieee_inexact 0
		.amdhsa_exception_int_div_zero 0
	.end_amdhsa_kernel
	.text
.Lfunc_end0:
	.size	bluestein_single_fwd_len686_dim1_half_op_CI_CI, .Lfunc_end0-bluestein_single_fwd_len686_dim1_half_op_CI_CI
                                        ; -- End function
	.section	.AMDGPU.csdata,"",@progbits
; Kernel info:
; codeLenInByte = 19836
; NumSgprs: 29
; NumVgprs: 80
; NumAgprs: 0
; TotalNumVgprs: 80
; ScratchSize: 0
; MemoryBound: 0
; FloatMode: 240
; IeeeMode: 1
; LDSByteSize: 2744 bytes/workgroup (compile time only)
; SGPRBlocks: 3
; VGPRBlocks: 9
; NumSGPRsForWavesPerEU: 29
; NumVGPRsForWavesPerEU: 80
; AccumOffset: 80
; Occupancy: 6
; WaveLimiterHint : 1
; COMPUTE_PGM_RSRC2:SCRATCH_EN: 0
; COMPUTE_PGM_RSRC2:USER_SGPR: 2
; COMPUTE_PGM_RSRC2:TRAP_HANDLER: 0
; COMPUTE_PGM_RSRC2:TGID_X_EN: 1
; COMPUTE_PGM_RSRC2:TGID_Y_EN: 0
; COMPUTE_PGM_RSRC2:TGID_Z_EN: 0
; COMPUTE_PGM_RSRC2:TIDIG_COMP_CNT: 0
; COMPUTE_PGM_RSRC3_GFX90A:ACCUM_OFFSET: 19
; COMPUTE_PGM_RSRC3_GFX90A:TG_SPLIT: 0
	.text
	.p2alignl 6, 3212836864
	.fill 256, 4, 3212836864
	.type	__hip_cuid_5ad30f66410b2b3c,@object ; @__hip_cuid_5ad30f66410b2b3c
	.section	.bss,"aw",@nobits
	.globl	__hip_cuid_5ad30f66410b2b3c
__hip_cuid_5ad30f66410b2b3c:
	.byte	0                               ; 0x0
	.size	__hip_cuid_5ad30f66410b2b3c, 1

	.ident	"AMD clang version 19.0.0git (https://github.com/RadeonOpenCompute/llvm-project roc-6.4.0 25133 c7fe45cf4b819c5991fe208aaa96edf142730f1d)"
	.section	".note.GNU-stack","",@progbits
	.addrsig
	.addrsig_sym __hip_cuid_5ad30f66410b2b3c
	.amdgpu_metadata
---
amdhsa.kernels:
  - .agpr_count:     0
    .args:
      - .actual_access:  read_only
        .address_space:  global
        .offset:         0
        .size:           8
        .value_kind:     global_buffer
      - .actual_access:  read_only
        .address_space:  global
        .offset:         8
        .size:           8
        .value_kind:     global_buffer
      - .actual_access:  read_only
        .address_space:  global
        .offset:         16
        .size:           8
        .value_kind:     global_buffer
      - .actual_access:  read_only
        .address_space:  global
        .offset:         24
        .size:           8
        .value_kind:     global_buffer
      - .actual_access:  read_only
        .address_space:  global
        .offset:         32
        .size:           8
        .value_kind:     global_buffer
      - .offset:         40
        .size:           8
        .value_kind:     by_value
      - .address_space:  global
        .offset:         48
        .size:           8
        .value_kind:     global_buffer
      - .address_space:  global
        .offset:         56
        .size:           8
        .value_kind:     global_buffer
      - .address_space:  global
        .offset:         64
        .size:           8
        .value_kind:     global_buffer
      - .address_space:  global
        .offset:         72
        .size:           8
        .value_kind:     global_buffer
      - .offset:         80
        .size:           4
        .value_kind:     by_value
      - .address_space:  global
        .offset:         88
        .size:           8
        .value_kind:     global_buffer
      - .address_space:  global
        .offset:         96
        .size:           8
        .value_kind:     global_buffer
    .group_segment_fixed_size: 2744
    .kernarg_segment_align: 8
    .kernarg_segment_size: 104
    .language:       OpenCL C
    .language_version:
      - 2
      - 0
    .max_flat_workgroup_size: 49
    .name:           bluestein_single_fwd_len686_dim1_half_op_CI_CI
    .private_segment_fixed_size: 0
    .sgpr_count:     29
    .sgpr_spill_count: 0
    .symbol:         bluestein_single_fwd_len686_dim1_half_op_CI_CI.kd
    .uniform_work_group_size: 1
    .uses_dynamic_stack: false
    .vgpr_count:     80
    .vgpr_spill_count: 0
    .wavefront_size: 64
amdhsa.target:   amdgcn-amd-amdhsa--gfx950
amdhsa.version:
  - 1
  - 2
...

	.end_amdgpu_metadata
